;; amdgpu-corpus repo=ggml-org/llama.cpp kind=compiled arch=gfx950 opt=O3
	.amdgcn_target "amdgcn-amd-amdhsa--gfx950"
	.amdhsa_code_object_version 6
	.section	.text._ZL18flash_attn_ext_vecILi64ELi1EL9ggml_type7ELS0_7ELb0EEvPKcS2_S2_S2_S2_PKiPfP15HIP_vector_typeIfLj2EEffffjfiS6_IjLj3EEiiiiiiiiiiiliiliiiiil,"axG",@progbits,_ZL18flash_attn_ext_vecILi64ELi1EL9ggml_type7ELS0_7ELb0EEvPKcS2_S2_S2_S2_PKiPfP15HIP_vector_typeIfLj2EEffffjfiS6_IjLj3EEiiiiiiiiiiiliiliiiiil,comdat
	.globl	_ZL18flash_attn_ext_vecILi64ELi1EL9ggml_type7ELS0_7ELb0EEvPKcS2_S2_S2_S2_PKiPfP15HIP_vector_typeIfLj2EEffffjfiS6_IjLj3EEiiiiiiiiiiiliiliiiiil ; -- Begin function _ZL18flash_attn_ext_vecILi64ELi1EL9ggml_type7ELS0_7ELb0EEvPKcS2_S2_S2_S2_PKiPfP15HIP_vector_typeIfLj2EEffffjfiS6_IjLj3EEiiiiiiiiiiiliiliiiiil
	.p2align	8
	.type	_ZL18flash_attn_ext_vecILi64ELi1EL9ggml_type7ELS0_7ELb0EEvPKcS2_S2_S2_S2_PKiPfP15HIP_vector_typeIfLj2EEffffjfiS6_IjLj3EEiiiiiiiiiiiliiliiiiil,@function
_ZL18flash_attn_ext_vecILi64ELi1EL9ggml_type7ELS0_7ELb0EEvPKcS2_S2_S2_S2_PKiPfP15HIP_vector_typeIfLj2EEffffjfiS6_IjLj3EEiiiiiiiiiiiliiliiiiil: ; @_ZL18flash_attn_ext_vecILi64ELi1EL9ggml_type7ELS0_7ELb0EEvPKcS2_S2_S2_S2_PKiPfP15HIP_vector_typeIfLj2EEffffjfiS6_IjLj3EEiiiiiiiiiiiliiliiiiil
; %bb.0:
	s_load_dwordx2 s[34:35], s[0:1], 0x64
	s_load_dwordx2 s[42:43], s[0:1], 0x80
	;; [unrolled: 1-line block ×3, first 2 shown]
	v_mov_b32_e32 v95, 1.0
	s_waitcnt lgkmcnt(0)
	v_cvt_f32_u32_e32 v1, s35
	s_sub_i32 s5, 0, s35
	v_rcp_iflag_f32_e32 v1, v1
	s_nop 0
	v_mul_f32_e32 v1, 0x4f7ffffe, v1
	v_cvt_u32_f32_e32 v1, v1
	s_nop 0
	v_readfirstlane_b32 s6, v1
	s_mul_i32 s5, s5, s6
	s_mul_hi_u32 s5, s6, s5
	s_add_i32 s6, s6, s5
	s_mul_hi_u32 s5, s4, s6
	s_mul_i32 s6, s5, s35
	s_sub_i32 s6, s4, s6
	s_add_i32 s7, s5, 1
	s_sub_i32 s8, s6, s35
	s_cmp_ge_u32 s6, s35
	s_cselect_b32 s5, s7, s5
	s_cselect_b32 s6, s8, s6
	s_add_i32 s7, s5, 1
	s_cmp_ge_u32 s6, s35
	s_cselect_b32 s33, s7, s5
	s_abs_i32 s6, s43
	v_cvt_f32_u32_e32 v1, s6
	s_mul_i32 s15, s33, s35
	s_sub_i32 s16, 0, s6
	s_sub_i32 s40, s4, s15
	v_rcp_iflag_f32_e32 v1, v1
	s_abs_i32 s14, s35
	s_xor_b32 s7, s35, s43
	s_ashr_i32 s7, s7, 31
	v_mul_f32_e32 v1, 0x4f7ffffe, v1
	v_cvt_u32_f32_e32 v1, v1
	s_load_dwordx4 s[8:11], s[0:1], 0x40
	s_load_dword s5, s[0:1], 0x50
	v_readfirstlane_b32 s4, v1
	s_mul_i32 s16, s16, s4
	s_mul_hi_u32 s15, s4, s16
	s_add_i32 s4, s4, s15
	s_mul_hi_u32 s4, s14, s4
	s_mul_i32 s15, s4, s6
	s_sub_i32 s14, s14, s15
	s_add_i32 s16, s4, 1
	s_sub_i32 s15, s14, s6
	s_cmp_ge_u32 s14, s6
	s_cselect_b32 s4, s16, s4
	s_cselect_b32 s14, s15, s14
	s_add_i32 s15, s4, 1
	s_cmp_ge_u32 s14, s6
	s_cselect_b32 s4, s15, s4
	s_xor_b32 s4, s4, s7
	s_sub_i32 s36, s4, s7
	s_abs_i32 s44, s36
	s_abs_i32 s12, s12
	v_cvt_f32_u32_e32 v2, s44
	v_cvt_f32_u32_e32 v1, s12
	s_sub_i32 s6, 0, s44
	s_sub_i32 s4, 0, s12
	v_rcp_iflag_f32_e32 v2, v2
	v_rcp_iflag_f32_e32 v1, v1
	s_abs_i32 s45, s40
	s_abs_i32 s43, s33
	v_mul_f32_e32 v2, 0x4f7ffffe, v2
	v_mul_f32_e32 v1, 0x4f7ffffe, v1
	v_cvt_u32_f32_e32 v2, v2
	v_cvt_u32_f32_e32 v1, v1
	v_readfirstlane_b32 s15, v2
	v_readfirstlane_b32 s14, v1
	s_mul_i32 s6, s6, s15
	s_mul_i32 s4, s4, s14
	s_mul_hi_u32 s6, s15, s6
	s_add_i32 s15, s15, s6
	s_mul_hi_u32 s4, s14, s4
	s_waitcnt lgkmcnt(0)
	v_cmp_le_f32_e64 s[6:7], s9, 0
	s_add_i32 s14, s14, s4
	s_and_b64 vcc, exec, s[6:7]
	s_cbranch_vccnz .LBB0_2
; %bb.1:
	v_mov_b32_e32 v1, s5
	v_sub_co_u32_e32 v1, vcc, s40, v1
	v_mov_b32_e32 v2, s11
	v_mov_b32_e32 v3, s10
	s_add_i32 s4, s40, 1
	v_lshlrev_b32_e32 v1, 1, v1
	v_cndmask_b32_e32 v2, v2, v3, vcc
	v_or_b32_e32 v1, 1, v1
	v_mov_b32_e32 v3, s4
	v_cndmask_b32_e32 v1, v1, v3, vcc
	v_cvt_f32_i32_e32 v1, v1
	v_cmp_neq_f32_e32 vcc, 1.0, v2
	s_mov_b32 s4, 0x3f2aaaab
	s_movk_i32 s6, 0x204
	v_cndmask_b32_e32 v1, 1.0, v1, vcc
	v_cmp_neq_f32_e32 vcc, 0, v1
	s_mov_b32 s5, 0x42b17218
	s_mov_b32 s7, 0x3fb8aa3b
	v_cndmask_b32_e32 v18, 1.0, v2, vcc
	v_frexp_mant_f32_e64 v2, |v18|
	v_cmp_gt_f32_e32 vcc, s4, v2
	s_mov_b32 s4, 0x3f317218
	s_brev_b32 s9, -2
	v_cndmask_b32_e64 v3, 1.0, 2.0, vcc
	v_mul_f32_e32 v2, v2, v3
	v_add_f32_e32 v5, 1.0, v2
	v_rcp_f32_e32 v10, v5
	v_add_f32_e32 v3, -1.0, v5
	v_sub_f32_e32 v7, v2, v3
	v_add_f32_e32 v3, -1.0, v2
	v_mul_f32_e32 v11, v3, v10
	v_mul_f32_e32 v4, v5, v11
	v_fma_f32 v6, v11, v5, -v4
	v_fmac_f32_e32 v6, v11, v7
	v_add_f32_e32 v2, v4, v6
	v_sub_f32_e32 v5, v3, v2
	v_pk_add_f32 v[8:9], v[2:3], v[4:5] neg_lo:[0,1] neg_hi:[0,1]
	v_mov_b32_e32 v7, v2
	v_pk_add_f32 v[2:3], v[8:9], v[6:7] neg_lo:[0,1] neg_hi:[0,1]
	v_mov_b32_e32 v6, 0x3e91f4c4
	v_add_f32_e32 v2, v2, v3
	v_add_f32_e32 v2, v5, v2
	v_mul_f32_e32 v3, v10, v2
	v_add_f32_e32 v2, v11, v3
	v_sub_f32_e32 v4, v2, v11
	v_sub_f32_e32 v12, v3, v4
	v_mul_f32_e32 v3, v2, v2
	v_fma_f32 v5, v2, v2, -v3
	v_add_f32_e32 v4, v12, v12
	v_fmac_f32_e32 v5, v2, v4
	v_add_f32_e32 v4, v3, v5
	v_fmac_f32_e32 v6, 0x3e76c4e1, v4
	v_fmaak_f32 v6, v4, v6, 0x3ecccdef
	v_sub_f32_e32 v3, v4, v3
	v_sub_f32_e32 v13, v5, v3
	v_mul_f32_e32 v3, v4, v6
	v_fma_f32 v5, v4, v6, -v3
	v_fmac_f32_e32 v5, v13, v6
	v_add_f32_e32 v6, v3, v5
	v_add_f32_e32 v7, 0x3f2aaaaa, v6
	v_sub_f32_e32 v3, v6, v3
	v_sub_f32_e32 v3, v5, v3
	v_add_f32_e32 v5, 0xbf2aaaaa, v7
	v_add_f32_e32 v3, 0x31739010, v3
	v_sub_f32_e32 v5, v6, v5
	v_pk_mul_f32 v[8:9], v[2:3], v[4:5]
	v_pk_add_f32 v[10:11], v[2:3], v[4:5]
	v_fma_f32 v6, v4, v2, -v8
	v_fmac_f32_e32 v6, v4, v12
	v_mov_b32_e32 v9, v11
	v_fmac_f32_e32 v6, v13, v2
	v_pk_add_f32 v[4:5], v[8:9], v[6:7]
	v_ldexp_f32 v14, v12, 1
	v_sub_f32_e32 v3, v4, v8
	v_sub_f32_e32 v3, v6, v3
	;; [unrolled: 1-line block ×3, first 2 shown]
	v_add_f32_e32 v9, v11, v6
	v_pk_mul_f32 v[6:7], v[4:5], v[4:5] op_sel:[0,1] op_sel_hi:[1,0]
	v_cvt_f64_f32_e64 v[10:11], |v18|
	v_frexp_exp_i32_f64_e32 v7, v[10:11]
	v_subbrev_co_u32_e32 v7, vcc, 0, v7, vcc
	v_cvt_f32_i32_e32 v7, v7
	v_fma_f32 v8, v4, v5, -v6
	v_fmac_f32_e32 v8, v4, v9
	v_fmac_f32_e32 v8, v3, v5
	v_mul_f32_e32 v4, 0x3f317218, v7
	v_fma_f32 v3, v7, s4, -v4
	v_fmamk_f32 v10, v7, 0xb102e308, v3
	v_ldexp_f32 v11, v2, 1
	v_add_f32_e32 v5, v6, v8
	v_pk_add_f32 v[2:3], v[4:5], v[10:11]
	v_mov_b32_e32 v12, v5
	v_mov_b32_e32 v13, v3
	;; [unrolled: 1-line block ×3, first 2 shown]
	v_pk_add_f32 v[6:7], v[12:13], v[6:7] neg_lo:[0,1] neg_hi:[0,1]
	v_mov_b32_e32 v9, v5
	v_pk_add_f32 v[6:7], v[8:9], v[6:7] neg_lo:[0,1] neg_hi:[0,1]
	v_mov_b32_e32 v11, v2
	v_add_f32_e32 v5, v14, v6
	v_add_f32_e32 v5, v5, v7
	v_pk_add_f32 v[6:7], v[2:3], v[4:5] neg_lo:[0,1] neg_hi:[0,1]
	v_pk_add_f32 v[8:9], v[2:3], v[4:5]
	v_mov_b32_e32 v16, v3
	v_mov_b32_e32 v7, v9
	v_pk_add_f32 v[12:13], v[10:11], v[6:7] neg_lo:[0,1] neg_hi:[0,1]
	v_pk_add_f32 v[6:7], v[10:11], v[6:7]
	v_mov_b32_e32 v4, v5
	v_pk_add_f32 v[10:11], v[6:7], v[2:3] op_sel:[1,0] op_sel_hi:[0,1] neg_lo:[0,1] neg_hi:[0,1]
	v_pk_add_f32 v[14:15], v[8:9], v[10:11] op_sel_hi:[1,0] neg_lo:[0,1] neg_hi:[0,1]
	v_mov_b32_e32 v8, v9
	v_mov_b32_e32 v9, v7
	;; [unrolled: 1-line block ×3, first 2 shown]
	v_pk_add_f32 v[8:9], v[8:9], v[16:17] neg_lo:[0,1] neg_hi:[0,1]
	v_mov_b32_e32 v5, v2
	v_pk_add_f32 v[2:3], v[4:5], v[8:9] neg_lo:[0,1] neg_hi:[0,1]
	v_mov_b32_e32 v14, v12
	v_pk_add_f32 v[4:5], v[14:15], v[2:3]
	v_mov_b32_e32 v13, v7
	v_pk_add_f32 v[8:9], v[4:5], v[4:5] op_sel:[0,1] op_sel_hi:[1,0]
	s_mov_b32 s4, 0x7f800000
	v_pk_add_f32 v[6:7], v[6:7], v[8:9] op_sel:[1,0] op_sel_hi:[0,1]
	v_mov_b32_e32 v5, v6
	v_pk_add_f32 v[10:11], v[4:5], v[12:13] neg_lo:[0,1] neg_hi:[0,1]
	v_mov_b32_e32 v3, v8
	v_sub_f32_e32 v4, v4, v10
	v_pk_add_f32 v[2:3], v[2:3], v[10:11] neg_lo:[0,1] neg_hi:[0,1]
	v_sub_f32_e32 v4, v12, v4
	v_add_f32_e32 v2, v2, v4
	v_add_f32_e32 v2, v2, v3
	;; [unrolled: 1-line block ×3, first 2 shown]
	v_sub_f32_e32 v4, v3, v6
	v_sub_f32_e32 v2, v2, v4
	v_mul_f32_e32 v4, v1, v3
	v_fma_f32 v3, v1, v3, -v4
	v_fmac_f32_e32 v3, v1, v2
	v_add_f32_e32 v2, v4, v3
	v_cmp_class_f32_e64 vcc, v4, s6
	v_sub_f32_e32 v5, v2, v4
	v_sub_f32_e32 v3, v3, v5
	v_cndmask_b32_e32 v2, v2, v4, vcc
	v_mov_b32_e32 v4, 0x37000000
	v_cmp_eq_f32_e32 vcc, s5, v2
	v_cmp_class_f32_e64 s[10:11], v18, s6
	s_nop 0
	v_cndmask_b32_e32 v4, 0, v4, vcc
	v_sub_f32_e32 v5, v2, v4
	v_mul_f32_e32 v6, 0x3fb8aa3b, v5
	v_fma_f32 v7, v5, s7, -v6
	v_rndne_f32_e32 v8, v6
	v_fmamk_f32 v7, v5, 0x32a5705f, v7
	v_sub_f32_e32 v6, v6, v8
	v_add_f32_e32 v6, v6, v7
	v_exp_f32_e32 v6, v6
	v_cvt_i32_f32_e32 v7, v8
	v_cmp_neq_f32_e64 vcc, |v2|, s4
	s_mov_b32 s4, 0xc2ce8ed0
	s_nop 0
	v_cndmask_b32_e32 v2, 0, v3, vcc
	v_ldexp_f32 v3, v6, v7
	v_cmp_ngt_f32_e32 vcc, s4, v5
	v_add_f32_e32 v2, v4, v2
	v_mov_b32_e32 v4, 0x7f800000
	v_cndmask_b32_e32 v3, 0, v3, vcc
	v_cmp_nlt_f32_e32 vcc, s5, v5
	v_mov_b32_e32 v5, 0x7fc00000
	s_nop 0
	v_cndmask_b32_e32 v3, v4, v3, vcc
	v_fma_f32 v2, v3, v2, v3
	v_cmp_class_f32_e64 vcc, v3, s6
	v_cmp_gt_f32_e64 s[6:7], 0, v1
	s_nop 0
	v_cndmask_b32_e32 v2, v2, v3, vcc
	v_trunc_f32_e32 v3, v1
	v_cmp_eq_f32_e32 vcc, v3, v1
	v_mul_f32_e32 v3, 0.5, v1
	v_trunc_f32_e32 v6, v3
	v_cmp_neq_f32_e64 s[4:5], v6, v3
	s_and_b64 s[4:5], vcc, s[4:5]
	s_nop 0
	v_cndmask_b32_e64 v3, 1.0, v18, s[4:5]
	v_bfi_b32 v2, s9, v2, v3
	v_cndmask_b32_e32 v3, v5, v2, vcc
	v_cmp_gt_f32_e32 vcc, 0, v18
	s_nop 1
	v_cndmask_b32_e32 v2, v2, v3, vcc
	v_cmp_eq_f32_e32 vcc, 0, v18
	s_xor_b64 s[6:7], s[6:7], vcc
	v_cndmask_b32_e64 v1, v4, 0, s[6:7]
	v_cndmask_b32_e64 v3, 0, v18, s[4:5]
	v_bfi_b32 v1, s9, v1, v3
	s_or_b64 vcc, vcc, s[10:11]
	v_cndmask_b32_e32 v1, v2, v1, vcc
	v_cmp_o_f32_e32 vcc, v18, v18
	s_nop 1
	v_cndmask_b32_e32 v95, v5, v1, vcc
.LBB0_2:
	s_load_dwordx16 s[16:31], s[0:1], 0x0
	v_bfe_u32 v92, v0, 10, 10
	s_mul_hi_u32 s10, s45, s15
	s_mul_hi_u32 s9, s43, s14
	v_and_b32_e32 v93, 0x3ff, v0
	v_cmp_eq_u32_e64 s[14:15], 0, v92
	s_and_saveexec_b64 s[4:5], s[14:15]
	s_cbranch_execz .LBB0_15
; %bb.3:
	s_load_dwordx4 s[48:51], s[0:1], 0x70
	v_lshlrev_b32_e32 v0, 4, v93
	v_mov_b32_e32 v1, 0
	v_cmp_gt_u32_e32 vcc, 16, v93
	v_mov_b32_e32 v6, 0
	s_waitcnt lgkmcnt(0)
	s_mul_i32 s6, s33, s50
	s_mul_i32 s11, s48, s2
	;; [unrolled: 1-line block ×3, first 2 shown]
	s_add_i32 s6, s6, s11
	s_add_i32 s6, s6, s7
	s_ashr_i32 s7, s6, 31
	s_add_u32 s6, s16, s6
	s_addc_u32 s7, s17, s7
	v_lshl_add_u64 v[2:3], s[6:7], 0, v[0:1]
	s_and_saveexec_b64 s[6:7], vcc
	s_cbranch_execz .LBB0_5
; %bb.4:
	global_load_dword v0, v[2:3], off
	s_waitcnt vmcnt(0)
	v_mul_f32_e32 v6, s8, v0
.LBB0_5:
	s_or_b64 exec, exec, s[6:7]
	s_and_saveexec_b64 s[6:7], vcc
	s_cbranch_execz .LBB0_7
; %bb.6:
	global_load_dword v0, v[2:3], off offset:4
	s_waitcnt vmcnt(0)
	v_mul_f32_e32 v1, s8, v0
.LBB0_7:
	s_or_b64 exec, exec, s[6:7]
	v_mov_b32_e32 v4, 0
	v_mov_b32_e32 v5, 0
	s_and_saveexec_b64 s[6:7], vcc
	s_cbranch_execz .LBB0_9
; %bb.8:
	global_load_dword v0, v[2:3], off offset:8
	s_waitcnt vmcnt(0)
	v_mul_f32_e32 v5, s8, v0
.LBB0_9:
	s_or_b64 exec, exec, s[6:7]
	s_and_saveexec_b64 s[6:7], vcc
	s_cbranch_execz .LBB0_11
; %bb.10:
	global_load_dword v0, v[2:3], off offset:12
	s_waitcnt vmcnt(0)
	v_mul_f32_e32 v4, s8, v0
.LBB0_11:
	s_or_b64 exec, exec, s[6:7]
	v_mbcnt_lo_u32_b32 v0, -1, 0
	v_mbcnt_hi_u32_b32 v0, -1, v0
	v_and_b32_e32 v2, 0x60, v0
	v_add_u32_e32 v2, 32, v2
	v_xor_b32_e32 v3, 4, v0
	v_cmp_lt_i32_e32 vcc, v3, v2
	v_max_f32_e64 v8, |v1|, |v1|
	v_max_f32_e64 v9, |v6|, |v6|
	v_cndmask_b32_e32 v3, v0, v3, vcc
	v_max_f32_e32 v8, v9, v8
	v_lshlrev_b32_e32 v3, 2, v3
	v_max3_f32 v8, v8, |v5|, |v4|
	ds_bpermute_b32 v9, v3, v8
	v_xor_b32_e32 v7, 2, v0
	v_cmp_lt_i32_e32 vcc, v7, v2
	v_xor_b32_e32 v10, 1, v0
	s_mov_b32 s8, 0x42fe0000
	v_cndmask_b32_e32 v7, v0, v7, vcc
	v_cmp_lt_i32_e32 vcc, v10, v2
	s_waitcnt lgkmcnt(0)
	v_max_f32_e32 v2, v9, v9
	v_lshlrev_b32_e32 v7, 2, v7
	v_max_f32_e32 v2, v8, v2
	ds_bpermute_b32 v8, v7, v2
	v_add_f32_e32 v9, v6, v1
	v_add_f32_e32 v9, v9, v5
	v_cndmask_b32_e32 v0, v0, v10, vcc
	v_add_f32_e32 v9, v9, v4
	s_waitcnt lgkmcnt(0)
	v_max_f32_e32 v8, v8, v8
	v_lshlrev_b32_e32 v0, 2, v0
	ds_bpermute_b32 v3, v3, v9
	v_max_f32_e32 v2, v2, v8
	ds_bpermute_b32 v8, v0, v2
	s_waitcnt lgkmcnt(1)
	v_add_f32_e32 v3, v9, v3
	ds_bpermute_b32 v9, v7, v3
	s_waitcnt lgkmcnt(1)
	v_max_f32_e32 v7, v8, v8
	v_max_f32_e32 v8, v2, v7
	v_div_scale_f32 v10, s[6:7], s8, s8, v8
	v_rcp_f32_e32 v11, v10
	s_waitcnt lgkmcnt(0)
	v_add_f32_e32 v2, v3, v9
	ds_bpermute_b32 v3, v0, v2
	v_mov_b32_e32 v7, 0
	v_fma_f32 v0, -v10, v11, 1.0
	v_fmac_f32_e32 v11, v0, v11
	v_div_scale_f32 v0, vcc, v8, s8, v8
	v_mul_f32_e32 v9, v0, v11
	v_fma_f32 v12, -v10, v9, v0
	v_fmac_f32_e32 v9, v12, v11
	v_fma_f32 v0, -v10, v9, v0
	v_div_fmas_f32 v0, v0, v11, v9
	v_div_fixup_f32 v0, v0, s8, v8
	v_cmp_neq_f32_e32 vcc, 0, v0
	s_and_saveexec_b64 s[6:7], vcc
	s_cbranch_execz .LBB0_13
; %bb.12:
	v_div_scale_f32 v7, s[16:17], v0, v0, v6
	v_rcp_f32_e32 v8, v7
	v_div_scale_f32 v9, vcc, v6, v0, v6
	s_brev_b32 s8, -2
	v_fma_f32 v10, -v7, v8, 1.0
	v_fmac_f32_e32 v8, v10, v8
	v_mul_f32_e32 v10, v9, v8
	v_fma_f32 v11, -v7, v10, v9
	v_fmac_f32_e32 v10, v11, v8
	v_fma_f32 v7, -v7, v10, v9
	v_div_fmas_f32 v7, v7, v8, v10
	v_div_fixup_f32 v6, v7, v0, v6
	v_trunc_f32_e32 v7, v6
	v_sub_f32_e32 v8, v6, v7
	v_cmp_ge_f32_e64 s[16:17], |v8|, 0.5
	s_nop 1
	v_cndmask_b32_e64 v8, 0, 1.0, s[16:17]
	v_div_scale_f32 v9, s[16:17], v0, v0, v1
	v_rcp_f32_e32 v10, v9
	v_bfi_b32 v6, s8, v8, v6
	v_add_f32_e32 v6, v7, v6
	v_cvt_i32_f32_e32 v6, v6
	v_fma_f32 v7, -v9, v10, 1.0
	v_fmac_f32_e32 v10, v7, v10
	v_div_scale_f32 v7, vcc, v1, v0, v1
	v_mul_f32_e32 v8, v7, v10
	v_fma_f32 v11, -v9, v8, v7
	v_fmac_f32_e32 v8, v11, v10
	v_fma_f32 v7, -v9, v8, v7
	v_div_fmas_f32 v7, v7, v10, v8
	v_div_fixup_f32 v1, v7, v0, v1
	v_trunc_f32_e32 v7, v1
	v_div_scale_f32 v9, s[16:17], v0, v0, v5
	v_sub_f32_e32 v8, v1, v7
	v_rcp_f32_e32 v10, v9
	v_cmp_ge_f32_e64 s[16:17], |v8|, 0.5
	s_nop 1
	v_cndmask_b32_e64 v8, 0, 1.0, s[16:17]
	v_bfi_b32 v1, s8, v8, v1
	v_add_f32_e32 v1, v7, v1
	v_fma_f32 v7, -v9, v10, 1.0
	v_fmac_f32_e32 v10, v7, v10
	v_div_scale_f32 v7, vcc, v5, v0, v5
	v_mul_f32_e32 v8, v7, v10
	v_fma_f32 v11, -v9, v8, v7
	v_fmac_f32_e32 v8, v11, v10
	v_fma_f32 v7, -v9, v8, v7
	v_div_fmas_f32 v7, v7, v10, v8
	v_div_fixup_f32 v5, v7, v0, v5
	v_trunc_f32_e32 v7, v5
	v_sub_f32_e32 v8, v5, v7
	v_cmp_ge_f32_e64 s[16:17], |v8|, 0.5
	v_cvt_i32_f32_e32 v1, v1
	s_nop 0
	v_cndmask_b32_e64 v8, 0, 1.0, s[16:17]
	v_div_scale_f32 v9, s[16:17], v0, v0, v4
	v_rcp_f32_e32 v10, v9
	v_bfi_b32 v5, s8, v8, v5
	v_add_f32_e32 v5, v7, v5
	v_cvt_i32_f32_e32 v5, v5
	v_fma_f32 v7, -v9, v10, 1.0
	v_fmac_f32_e32 v10, v7, v10
	v_div_scale_f32 v7, vcc, v4, v0, v4
	v_mul_f32_e32 v8, v7, v10
	v_fma_f32 v11, -v9, v8, v7
	v_fmac_f32_e32 v8, v11, v10
	v_fma_f32 v7, -v9, v8, v7
	v_div_fmas_f32 v7, v7, v10, v8
	v_div_fixup_f32 v4, v7, v0, v4
	v_trunc_f32_e32 v7, v4
	v_sub_f32_e32 v8, v4, v7
	v_cmp_ge_f32_e64 s[16:17], |v8|, 0.5
	v_and_b32_e32 v5, 0xff, v5
	v_lshlrev_b32_e32 v5, 16, v5
	v_cndmask_b32_e64 v8, 0, 1.0, s[16:17]
	v_bfi_b32 v4, s8, v8, v4
	v_add_f32_e32 v4, v7, v4
	v_cvt_i32_f32_e32 v4, v4
	v_lshl_or_b32 v4, v4, 24, v5
	v_mov_b32_e32 v5, 8
	v_lshlrev_b32_sdwa v1, v5, v1 dst_sel:DWORD dst_unused:UNUSED_PAD src0_sel:DWORD src1_sel:BYTE_0
	v_and_b32_e32 v5, 0xff, v6
	v_or3_b32 v7, v4, v1, v5
.LBB0_13:
	s_or_b64 exec, exec, s[6:7]
	v_and_b32_e32 v4, 0x77, v93
	v_lshlrev_b32_e32 v1, 2, v93
	v_cmp_eq_u32_e32 vcc, 0, v4
	ds_write_b32 v1, v7
	s_and_b64 exec, exec, vcc
	s_cbranch_execz .LBB0_15
; %bb.14:
	s_waitcnt lgkmcnt(1)
	v_add_f32_e32 v1, v2, v3
	ds_write_b64 v93, v[0:1] offset:64
.LBB0_15:
	s_or_b64 exec, exec, s[4:5]
	v_and_b32_e32 v10, 3, v93
	v_lshlrev_b32_e32 v4, 2, v10
	v_mov_b32_e32 v99, 0
	s_waitcnt lgkmcnt(0)
	s_barrier
	ds_read2_b32 v[6:7], v4 offset1:4
	ds_read2_b32 v[8:9], v4 offset0:8 offset1:12
	ds_read_b128 v[0:3], v99 offset:64
	s_ashr_i32 s41, s40, 31
	s_ashr_i32 s5, s36, 31
	;; [unrolled: 1-line block ×3, first 2 shown]
	s_cmp_eq_u64 s[26:27], 0
	s_waitcnt lgkmcnt(0)
	s_barrier
	s_cbranch_scc1 .LBB0_17
; %bb.16:
	s_load_dword s6, s[0:1], 0xd0
	s_mov_b32 s7, 0
	s_waitcnt lgkmcnt(0)
	s_mul_i32 s6, s6, s33
	s_add_i32 s6, s6, s2
	s_lshl_b64 s[6:7], s[6:7], 2
	s_add_u32 s6, s26, s6
	s_addc_u32 s7, s27, s7
	s_load_dword s42, s[6:7], 0x0
.LBB0_17:
	v_lshlrev_b32_e32 v11, 5, v92
	v_add_u32_e32 v94, v11, v93
	s_lshl_b32 s16, s3, 7
	s_mov_b32 s27, 0
	s_waitcnt lgkmcnt(0)
	s_cmp_ge_i32 s16, s42
	v_mbcnt_lo_u32_b32 v98, -1, 0
	v_lshlrev_b32_e32 v96, 1, v94
	v_lshlrev_b32_e32 v97, 2, v93
	s_cbranch_scc1 .LBB0_29
; %bb.18:
	s_load_dwordx4 s[36:39], s[0:1], 0x98
	s_load_dwordx2 s[54:55], s[0:1], 0x8c
	s_load_dwordx2 s[6:7], s[0:1], 0xc8
	s_xor_b32 s5, s41, s5
	s_mul_i32 s9, s9, s12
	s_waitcnt lgkmcnt(0)
	s_mul_i32 s11, s37, s33
	s_mul_i32 s63, s36, s4
	s_mul_hi_u32 s8, s36, s33
	s_add_i32 s63, s63, s11
	s_add_i32 s37, s63, s8
	s_mul_i32 s8, s10, s44
	s_sub_i32 s8, s45, s8
	s_add_i32 s11, s10, 1
	s_sub_i32 s17, s8, s44
	s_cmp_ge_u32 s8, s44
	s_cselect_b32 s10, s11, s10
	s_cselect_b32 s8, s17, s8
	s_add_i32 s11, s10, 1
	s_cmp_ge_u32 s8, s44
	s_cselect_b32 s8, s11, s10
	s_xor_b32 s8, s8, s5
	s_sub_i32 s5, s8, s5
	s_mul_i32 s52, s5, s55
	s_mul_i32 s56, s5, s39
	s_sub_i32 s5, s43, s9
	s_ashr_i32 s53, s52, 31
	s_ashr_i32 s57, s56, 31
	s_sub_i32 s8, s5, s12
	s_cmp_ge_u32 s5, s12
	s_cselect_b32 s5, s8, s5
	s_sub_i32 s8, s5, s12
	s_cmp_ge_u32 s5, s12
	s_cselect_b32 s5, s8, s5
	s_xor_b32 s5, s5, s4
	s_sub_i32 s5, s5, s4
	s_ashr_i32 s10, s5, 31
	s_load_dword s11, s[0:1], 0xd4
	s_load_dwordx2 s[8:9], s[0:1], 0xa8
	s_mul_i32 s10, s6, s10
	s_mul_hi_u32 s12, s6, s5
	s_add_i32 s10, s12, s10
	s_mul_i32 s7, s7, s5
	s_mul_i32 s26, s13, s2
	s_add_i32 s10, s10, s7
	s_ashr_i32 s39, s26, 31
	s_cmp_lg_u64 s[22:23], 0
	s_cselect_b64 s[44:45], -1, 0
	s_waitcnt lgkmcnt(0)
	s_lshl_b32 s46, s11, 7
	s_mov_b32 s17, s27
	s_add_u32 s12, s18, s52
	s_mul_i32 s5, s6, s5
	s_addc_u32 s13, s19, s53
	s_lshl_b64 s[6:7], s[16:17], 1
	s_add_u32 s5, s5, s6
	s_addc_u32 s6, s10, s7
	s_add_u32 s7, s22, s26
	s_addc_u32 s10, s23, s39
	s_mov_b32 s47, s27
	s_add_u32 s60, s7, s5
	s_mul_i32 s62, s36, s33
	v_bfe_u32 v12, v93, 3, 1
	s_addc_u32 s61, s10, s6
	s_lshl_b64 s[22:23], s[46:47], 1
	v_lshrrev_b32_e32 v24, 4, v93
	v_mov_b32_e32 v34, s33
	s_add_u32 s58, s12, s62
	v_mul_hi_u32_u24_e32 v13, 24, v12
	v_mul_u32_u24_e32 v12, 24, v12
	s_mul_i32 s5, s9, s33
	s_mul_i32 s4, s8, s4
	v_add_u32_e32 v25, v11, v24
	s_addc_u32 s59, s13, s37
	s_add_i32 s6, s4, s5
	v_mad_u64_u32 v[12:13], s[4:5], s8, v34, v[12:13]
	v_add_u32_e32 v13, s6, v13
	v_mul_lo_u32 v16, s38, v25
	v_mov_b32_e32 v5, 0
	v_lshl_add_u64 v[14:15], v[12:13], 0, s[56:57]
	v_ashrrev_i32_e32 v17, 31, v16
	v_lshl_add_u64 v[18:19], v[14:15], 0, v[16:17]
	v_lshl_add_u64 v[14:15], v[12:13], 0, v[4:5]
	;; [unrolled: 1-line block ×4, first 2 shown]
	v_add_u32_e32 v16, 2, v25
	v_mul_lo_u32 v16, s38, v16
	v_ashrrev_i32_e32 v17, 31, v16
	v_lshl_add_u64 v[26:27], v[12:13], 0, v[16:17]
	v_lshl_add_u64 v[28:29], v[14:15], 0, v[16:17]
	v_add_u32_e32 v16, 4, v25
	v_mul_lo_u32 v16, s38, v16
	v_ashrrev_i32_e32 v17, 31, v16
	v_lshl_add_u64 v[32:33], v[12:13], 0, v[16:17]
	v_lshl_add_u64 v[36:37], v[14:15], 0, v[16:17]
	;; [unrolled: 5-line block ×5, first 2 shown]
	v_add_u32_e32 v16, 24, v25
	v_add_u32_e32 v20, 30, v25
	v_mul_lo_u32 v16, s38, v16
	v_mul_lo_u32 v20, s38, v20
	v_ashrrev_i32_e32 v17, 31, v16
	v_ashrrev_i32_e32 v21, 31, v20
	v_lshl_add_u64 v[60:61], v[14:15], 0, v[16:17]
	v_lshl_add_u64 v[64:65], v[12:13], 0, v[16:17]
	v_add_u32_e32 v16, 22, v25
	v_lshl_add_u64 v[42:43], v[14:15], 0, v[20:21]
	v_lshl_add_u64 v[46:47], v[12:13], 0, v[20:21]
	v_add_u32_e32 v20, 8, v25
	v_mul_lo_u32 v16, s38, v16
	v_mul_lo_u32 v20, s38, v20
	v_ashrrev_i32_e32 v17, 31, v16
	v_ashrrev_i32_e32 v21, 31, v20
	v_lshl_add_u64 v[66:67], v[14:15], 0, v[16:17]
	v_lshl_add_u64 v[70:71], v[12:13], 0, v[16:17]
	v_add_u32_e32 v16, 20, v25
	v_lshl_add_u64 v[50:51], v[12:13], 0, v[20:21]
	v_lshl_add_u64 v[56:57], v[14:15], 0, v[20:21]
	;; [unrolled: 10-line block ×4, first 2 shown]
	v_mul_lo_u32 v16, s38, v16
	v_add_u32_e32 v20, 14, v25
	v_ashrrev_i32_e32 v17, 31, v16
	v_mul_lo_u32 v20, s38, v20
	v_cmp_eq_u32_e64 s[4:5], 3, v10
	v_cmp_eq_u32_e64 s[6:7], 0, v10
	;; [unrolled: 1-line block ×4, first 2 shown]
	v_mbcnt_hi_u32_b32 v10, -1, v98
	v_ashrrev_i32_e32 v21, 31, v20
	v_lshl_add_u64 v[84:85], v[14:15], 0, v[16:17]
	v_lshl_add_u64 v[88:89], v[12:13], 0, v[16:17]
	v_and_b32_e32 v16, 0x7c, v10
	v_lshl_add_u64 v[86:87], v[12:13], 0, v[20:21]
	v_lshl_add_u64 v[90:91], v[14:15], 0, v[20:21]
	v_add_u32_e32 v16, 4, v16
	v_xor_b32_e32 v20, 2, v10
	v_and_b32_e32 v12, 0x60, v10
	v_xor_b32_e32 v17, 1, v10
	v_cmp_lt_i32_e32 vcc, v20, v16
	v_add_u32_e32 v12, 32, v12
	v_xor_b32_e32 v13, 4, v10
	v_cndmask_b32_e32 v20, v10, v20, vcc
	v_cmp_lt_i32_e32 vcc, v17, v16
	v_xor_b32_e32 v14, 8, v10
	v_xor_b32_e32 v15, 16, v10
	v_cndmask_b32_e32 v16, v10, v17, vcc
	v_cmp_lt_i32_e32 vcc, v13, v12
	v_lshlrev_b32_e32 v100, 2, v20
	s_mul_i32 s48, s54, s16
	v_cndmask_b32_e32 v13, v10, v13, vcc
	v_cmp_lt_i32_e32 vcc, v14, v12
	s_mul_i32 s50, s46, s54
	v_lshlrev_b32_e32 v101, 2, v16
	v_cndmask_b32_e32 v17, v10, v14, vcc
	v_cmp_lt_i32_e32 vcc, v15, v12
	v_and_b32_e32 v12, 0x7c, v93
	v_add_u32_e32 v12, v11, v12
	v_mul_lo_u32 v38, v12, s54
	v_add_u32_e32 v30, s54, v38
	v_add_u32_e32 v20, s54, v30
	;; [unrolled: 1-line block ×3, first 2 shown]
	v_mad_u64_u32 v[34:35], s[54:55], s36, v34, v[4:5]
	v_cndmask_b32_e32 v10, v10, v15, vcc
	v_or_b32_e32 v11, v11, v24
	v_ashrrev_i32_e32 v31, 31, v30
	v_ashrrev_i32_e32 v21, 31, v20
	;; [unrolled: 1-line block ×3, first 2 shown]
	v_add_u32_e32 v35, s63, v35
	v_lshlrev_b32_e32 v103, 2, v17
	v_lshlrev_b32_e32 v104, 2, v10
	;; [unrolled: 1-line block ×4, first 2 shown]
	v_lshl_add_u64 v[10:11], v[34:35], 0, v[14:15]
	v_lshl_add_u64 v[16:17], v[34:35], 0, v[20:21]
	;; [unrolled: 1-line block ×6, first 2 shown]
	s_add_u32 s12, s20, s56
	s_addc_u32 s13, s21, s57
	v_ashrrev_i32_e32 v39, 31, v38
	v_lshl_add_u64 v[34:35], v[34:35], 0, s[52:53]
	s_add_u32 s17, s62, s52
	v_lshl_add_u64 v[18:19], s[20:21], 0, v[18:19]
	v_lshl_add_u64 v[22:23], s[20:21], 0, v[22:23]
	;; [unrolled: 1-line block ×3, first 2 shown]
	s_addc_u32 s20, s37, s53
	v_lshlrev_b32_e32 v102, 2, v13
	v_lshlrev_b32_e32 v12, 1, v12
	v_mov_b32_e32 v13, v5
	v_lshl_add_u64 v[34:35], s[18:19], 0, v[34:35]
	s_add_u32 s18, s18, s17
	v_lshl_add_u64 v[12:13], s[60:61], 0, v[12:13]
	v_lshl_add_u64 v[28:29], s[12:13], 0, v[28:29]
	;; [unrolled: 1-line block ×3, first 2 shown]
	s_addc_u32 s19, s19, s20
	v_lshl_add_u64 v[42:43], s[12:13], 0, v[42:43]
	v_lshl_add_u64 v[44:45], s[12:13], 0, v[44:45]
	;; [unrolled: 1-line block ×21, first 2 shown]
	v_and_b32_e32 v108, 28, v97
	s_mul_i32 s26, s38, s16
	s_mov_b32 s49, s27
	s_mov_b32 s51, s27
	s_mul_i32 s38, s46, s38
	s_mov_b32 s39, s27
	v_lshl_add_u64 v[12:13], v[12:13], 0, 6
	v_lshl_add_u64 v[14:15], s[58:59], 0, v[14:15]
	v_lshl_add_u64 v[18:19], v[18:19], 0, 4
	v_lshl_add_u64 v[20:21], s[58:59], 0, v[20:21]
	v_lshl_add_u64 v[22:23], v[22:23], 0, 8
	v_lshl_add_u64 v[26:27], s[12:13], 0, v[26:27]
	v_lshl_add_u64 v[28:29], v[28:29], 0, 8
	v_lshl_add_u64 v[30:31], s[58:59], 0, v[30:31]
	v_lshl_add_u64 v[32:33], s[12:13], 0, v[32:33]
	v_lshl_add_u64 v[36:37], v[36:37], 0, 8
	v_lshl_add_u64 v[38:39], s[18:19], 0, v[38:39]
	v_lshl_add_u64 v[40:41], s[12:13], 0, v[40:41]
	v_lshl_add_u64 v[42:43], v[42:43], 0, 8
	v_lshl_add_u64 v[44:45], v[44:45], 0, 8
	v_lshl_add_u64 v[46:47], v[46:47], 0, 4
	v_lshl_add_u64 v[48:49], v[48:49], 0, 8
	v_lshl_add_u64 v[50:51], s[12:13], 0, v[50:51]
	v_lshl_add_u64 v[52:53], v[52:53], 0, 4
	v_lshl_add_u64 v[54:55], v[54:55], 0, 8
	v_lshl_add_u64 v[56:57], v[56:57], 0, 8
	v_lshl_add_u64 v[58:59], v[58:59], 0, 4
	v_lshl_add_u64 v[60:61], v[60:61], 0, 8
	v_lshl_add_u64 v[62:63], s[12:13], 0, v[62:63]
	v_lshl_add_u64 v[64:65], v[64:65], 0, 4
	v_lshl_add_u64 v[66:67], v[66:67], 0, 8
	v_lshl_add_u64 v[68:69], v[68:69], 0, 8
	v_lshl_add_u64 v[70:71], v[70:71], 0, 4
	v_lshl_add_u64 v[72:73], v[72:73], 0, 8
	v_lshl_add_u64 v[74:75], s[12:13], 0, v[74:75]
	v_lshl_add_u64 v[76:77], v[76:77], 0, 4
	v_lshl_add_u64 v[78:79], v[78:79], 0, 8
	v_lshl_add_u64 v[80:81], v[80:81], 0, 8
	v_lshl_add_u64 v[82:83], v[82:83], 0, 4
	v_lshl_add_u64 v[84:85], v[84:85], 0, 8
	v_lshl_add_u64 v[86:87], s[12:13], 0, v[86:87]
	v_lshl_add_u64 v[88:89], v[88:89], 0, 4
	v_lshl_add_u64 v[90:91], v[90:91], 0, 8
	s_movk_i32 s17, 0x1000
	s_mov_b32 s18, 0x3fb8aa3b
	s_mov_b32 s19, 0xc2ce8ed0
	;; [unrolled: 1-line block ×4, first 2 shown]
	v_or_b32_e32 v107, 16, v4
	v_and_b32_e32 v109, 4, v93
	v_or_b32_e32 v110, 1, v108
	v_or_b32_e32 v111, 2, v108
	v_or_b32_e32 v112, 3, v108
	v_mov_b32_e32 v118, 0xfeffffff
	v_mov_b32_e32 v113, 0x7f800000
	;; [unrolled: 1-line block ×5, first 2 shown]
                                        ; implicit-def: $vgpr115
.LBB0_19:                               ; =>This Inner Loop Header: Depth=1
	v_lshl_add_u64 v[122:123], v[34:35], 0, s[48:49]
	v_lshl_add_u64 v[120:121], v[38:39], 0, s[48:49]
	global_load_dword v117, v[122:123], off offset:8
	global_load_dwordx2 v[124:125], v[120:121], off
	global_load_dword v119, v[122:123], off offset:32
	global_load_dwordx2 v[126:127], v[120:121], off offset:24
	v_mov_b32_e32 v121, 0
	v_mov_b32_e32 v123, 0
	;; [unrolled: 1-line block ×4, first 2 shown]
	s_and_b64 vcc, exec, s[44:45]
	s_waitcnt vmcnt(3)
	v_and_b32_e32 v120, 0xf0f0f0f, v117
	s_waitcnt vmcnt(2)
	v_ashrrev_i32_e32 v122, v4, v125
	v_ashrrev_i32_e32 v125, v107, v125
	v_cvt_f32_f16_e32 v130, v124
	v_cvt_f32_f16_sdwa v124, v124 dst_sel:DWORD dst_unused:UNUSED_PAD src0_sel:WORD_1
	v_lshrrev_b32_e32 v117, 4, v117
	s_waitcnt vmcnt(0)
	v_ashrrev_i32_e32 v132, v4, v127
	v_lshlrev_b32_e32 v134, 4, v122
	v_lshlrev_b32_e32 v135, 11, v122
	;; [unrolled: 1-line block ×8, first 2 shown]
	v_ashrrev_i32_e32 v127, v107, v127
	v_and_b32_e32 v117, 0xf0f0f0f, v117
	v_lshlrev_b32_e32 v140, 4, v132
	v_lshlrev_b32_e32 v141, 11, v132
	v_lshlrev_b32_e32 v142, 18, v132
	v_lshlrev_b32_e32 v132, 25, v132
	v_and_b32_e32 v136, 0x100000, v136
	v_and_b32_e32 v122, 0x10000000, v122
	;; [unrolled: 1-line block ×5, first 2 shown]
	v_lshrrev_b32_e32 v119, 4, v119
	v_lshlrev_b32_e32 v143, 4, v127
	v_lshlrev_b32_e32 v144, 11, v127
	;; [unrolled: 1-line block ×4, first 2 shown]
	v_and_b32_e32 v134, 16, v134
	v_and_b32_e32 v135, 0x1000, v135
	;; [unrolled: 1-line block ×6, first 2 shown]
	v_or3_b32 v120, v122, v120, v136
	v_or3_b32 v117, v125, v117, v139
	v_cvt_f32_f16_e32 v133, v126
	v_cvt_f32_f16_sdwa v126, v126 dst_sel:DWORD dst_unused:UNUSED_PAD src0_sel:WORD_1
	v_and_b32_e32 v119, 0xf0f0f0f, v119
	v_and_b32_e32 v140, 16, v140
	;; [unrolled: 1-line block ×5, first 2 shown]
	v_or3_b32 v122, v132, v131, v142
	v_or3_b32 v125, v120, v134, v135
	;; [unrolled: 1-line block ×3, first 2 shown]
	v_and_b32_e32 v143, 16, v143
	v_and_b32_e32 v144, 0x1000, v144
	v_or3_b32 v119, v127, v119, v145
	v_mul_f32_e32 v120, v0, v130
	v_mul_f32_e32 v130, v1, v124
	v_or3_b32 v124, v122, v140, v141
	v_dot4c_i32_i8_e32 v121, v125, v6
	v_dot4c_i32_i8_e32 v123, v117, v7
	v_or3_b32 v119, v119, v143, v144
	v_dot4c_i32_i8_e32 v128, v124, v8
	v_cvt_f32_i32_e32 v125, v121
	v_cvt_f32_i32_e32 v124, v123
	v_dot4c_i32_i8_e32 v129, v119, v9
	v_mul_f32_e32 v131, v3, v126
	v_cvt_f32_i32_e32 v127, v128
	v_mul_f32_e32 v128, 0x3e000000, v130
	v_cvt_f32_i32_e32 v126, v129
	v_pk_fma_f32 v[120:121], v[120:121], v[124:125], v[128:129] op_sel_hi:[0,1,0]
	v_mul_f32_e32 v122, v2, v133
	v_mul_f32_e32 v130, 0x3e000000, v131
	v_add_f32_e32 v117, 0, v121
	v_pk_fma_f32 v[122:123], v[122:123], v[126:127], v[130:131] op_sel_hi:[0,1,0]
	v_add_f32_e32 v117, v120, v117
	v_add_f32_e32 v117, v117, v123
	;; [unrolled: 1-line block ×3, first 2 shown]
	ds_bpermute_b32 v119, v100, v117
	s_waitcnt lgkmcnt(0)
	v_add_f32_e32 v117, v117, v119
	ds_bpermute_b32 v119, v101, v117
	s_waitcnt lgkmcnt(0)
	v_add_f32_e32 v117, v117, v119
	s_cbranch_vccz .LBB0_21
; %bb.20:                               ;   in Loop: Header=BB0_19 Depth=1
	global_load_ushort v119, v[12:13], off offset:-6
	s_waitcnt vmcnt(0)
	v_fma_mix_f32 v117, v95, v119, v117 op_sel_hi:[0,1,0]
.LBB0_21:                               ;   in Loop: Header=BB0_19 Depth=1
	v_lshl_add_u64 v[120:121], v[30:31], 0, s[48:49]
	v_lshl_add_u64 v[122:123], v[24:25], 0, s[48:49]
	global_load_dword v119, v[122:123], off offset:8
	global_load_dwordx2 v[124:125], v[120:121], off
	global_load_dword v126, v[122:123], off offset:32
                                        ; kill: killed $vgpr122_vgpr123
	s_nop 0
	global_load_dwordx2 v[120:121], v[120:121], off offset:24
	v_mov_b32_e32 v123, 0
	v_mov_b32_e32 v127, 0
	;; [unrolled: 1-line block ×4, first 2 shown]
	s_andn2_b64 vcc, exec, s[44:45]
	s_waitcnt vmcnt(3)
	v_and_b32_e32 v122, 0xf0f0f0f, v119
	s_waitcnt vmcnt(2)
	v_ashrrev_i32_e32 v128, v4, v125
	v_ashrrev_i32_e32 v125, v107, v125
	v_lshrrev_b32_e32 v119, 4, v119
	s_waitcnt vmcnt(1)
	v_and_b32_e32 v131, 0xf0f0f0f, v126
	s_waitcnt vmcnt(0)
	v_cvt_f32_f16_e32 v134, v120
	v_cvt_f32_f16_sdwa v135, v120 dst_sel:DWORD dst_unused:UNUSED_PAD src0_sel:WORD_1
	v_lshrrev_b32_e32 v120, 4, v126
	v_lshlrev_b32_e32 v126, 4, v128
	v_lshlrev_b32_e32 v136, 11, v128
	;; [unrolled: 1-line block ×8, first 2 shown]
	v_cvt_f32_f16_e32 v129, v124
	v_ashrrev_i32_e32 v133, v4, v121
	v_ashrrev_i32_e32 v121, v107, v121
	v_and_b32_e32 v119, 0xf0f0f0f, v119
	v_and_b32_e32 v137, 0x100000, v137
	;; [unrolled: 1-line block ×5, first 2 shown]
	v_lshlrev_b32_e32 v141, 4, v133
	v_lshlrev_b32_e32 v142, 11, v133
	;; [unrolled: 1-line block ×8, first 2 shown]
	v_and_b32_e32 v126, 16, v126
	v_and_b32_e32 v136, 0x1000, v136
	;; [unrolled: 1-line block ×4, first 2 shown]
	v_or3_b32 v122, v128, v122, v137
	v_or3_b32 v119, v125, v119, v140
	v_cvt_f32_f16_sdwa v124, v124 dst_sel:DWORD dst_unused:UNUSED_PAD src0_sel:WORD_1
	v_and_b32_e32 v120, 0xf0f0f0f, v120
	v_and_b32_e32 v143, 0x100000, v143
	;; [unrolled: 1-line block ×5, first 2 shown]
	v_or3_b32 v126, v122, v126, v136
	v_or3_b32 v119, v119, v138, v139
	v_and_b32_e32 v141, 16, v141
	v_and_b32_e32 v142, 0x1000, v142
	;; [unrolled: 1-line block ×4, first 2 shown]
	v_or3_b32 v125, v133, v131, v143
	v_or3_b32 v121, v121, v120, v146
	v_mul_f32_e32 v128, v3, v135
	v_dot4c_i32_i8_e32 v123, v126, v6
	v_dot4c_i32_i8_e32 v127, v119, v7
	v_mul_f32_e32 v120, v0, v129
	v_or3_b32 v125, v125, v141, v142
	v_or3_b32 v121, v121, v144, v145
	v_mul_f32_e32 v126, 0x3e000000, v128
	v_cvt_f32_i32_e32 v129, v123
	v_cvt_f32_i32_e32 v128, v127
	v_dot4c_i32_i8_e32 v130, v125, v8
	v_dot4c_i32_i8_e32 v132, v121, v9
	v_mul_f32_e32 v124, v1, v124
	v_mul_f32_e32 v124, 0x3e000000, v124
	v_cvt_f32_i32_e32 v131, v130
	v_cvt_f32_i32_e32 v130, v132
	v_pk_fma_f32 v[120:121], v[120:121], v[128:129], v[124:125] op_sel_hi:[0,1,0]
	v_mul_f32_e32 v122, v2, v134
	v_add_f32_e32 v119, 0, v121
	v_add_f32_e32 v119, v120, v119
	v_pk_fma_f32 v[120:121], v[122:123], v[130:131], v[126:127] op_sel_hi:[0,1,0]
	v_add_f32_e32 v119, v119, v121
	v_add_f32_e32 v119, v120, v119
	ds_bpermute_b32 v120, v100, v119
	v_cndmask_b32_e64 v121, 0, 1, s[44:45]
	v_cmp_ne_u32_e64 s[12:13], 1, v121
	s_waitcnt lgkmcnt(0)
	v_add_f32_e32 v119, v119, v120
	ds_bpermute_b32 v120, v101, v119
	s_waitcnt lgkmcnt(0)
	v_add_f32_e32 v119, v119, v120
	s_cbranch_vccnz .LBB0_23
; %bb.22:                               ;   in Loop: Header=BB0_19 Depth=1
	global_load_ushort v120, v[12:13], off offset:-4
	s_waitcnt vmcnt(0)
	v_fma_mix_f32 v119, v95, v120, v119 op_sel_hi:[0,1,0]
.LBB0_23:                               ;   in Loop: Header=BB0_19 Depth=1
	v_lshl_add_u64 v[120:121], v[20:21], 0, s[48:49]
	v_lshl_add_u64 v[122:123], v[16:17], 0, s[48:49]
	global_load_dword v126, v[122:123], off offset:8
	global_load_dwordx2 v[124:125], v[120:121], off
	global_load_dword v127, v[122:123], off offset:32
                                        ; kill: killed $vgpr122_vgpr123
	s_nop 0
	global_load_dwordx2 v[120:121], v[120:121], off offset:24
	v_mov_b32_e32 v123, 0
	v_mov_b32_e32 v128, 0
	;; [unrolled: 1-line block ×4, first 2 shown]
	s_and_b64 vcc, exec, s[12:13]
	s_waitcnt vmcnt(3)
	v_and_b32_e32 v122, 0xf0f0f0f, v126
	s_waitcnt vmcnt(2)
	v_ashrrev_i32_e32 v129, v4, v125
	v_ashrrev_i32_e32 v125, v107, v125
	v_lshrrev_b32_e32 v126, 4, v126
	s_waitcnt vmcnt(1)
	v_and_b32_e32 v133, 0xf0f0f0f, v127
	s_waitcnt vmcnt(0)
	v_ashrrev_i32_e32 v134, v4, v121
	v_cvt_f32_f16_e32 v135, v120
	v_cvt_f32_f16_sdwa v136, v120 dst_sel:DWORD dst_unused:UNUSED_PAD src0_sel:WORD_1
	v_lshrrev_b32_e32 v120, 4, v127
	v_lshlrev_b32_e32 v127, 4, v129
	v_lshlrev_b32_e32 v137, 11, v129
	;; [unrolled: 1-line block ×8, first 2 shown]
	v_and_b32_e32 v126, 0xf0f0f0f, v126
	v_lshlrev_b32_e32 v142, 4, v134
	v_lshlrev_b32_e32 v143, 11, v134
	;; [unrolled: 1-line block ×4, first 2 shown]
	v_and_b32_e32 v138, 0x100000, v138
	v_and_b32_e32 v129, 0x10000000, v129
	;; [unrolled: 1-line block ×4, first 2 shown]
	v_ashrrev_i32_e32 v121, v107, v121
	v_and_b32_e32 v127, 16, v127
	v_and_b32_e32 v137, 0x1000, v137
	;; [unrolled: 1-line block ×6, first 2 shown]
	v_or3_b32 v122, v129, v122, v138
	v_or3_b32 v125, v125, v126, v141
	v_cvt_f32_f16_e32 v131, v124
	v_cvt_f32_f16_sdwa v124, v124 dst_sel:DWORD dst_unused:UNUSED_PAD src0_sel:WORD_1
	v_lshlrev_b32_e32 v145, 4, v121
	v_lshlrev_b32_e32 v146, 11, v121
	;; [unrolled: 1-line block ×4, first 2 shown]
	v_and_b32_e32 v142, 16, v142
	v_and_b32_e32 v143, 0x1000, v143
	v_or3_b32 v126, v134, v133, v144
	v_or3_b32 v127, v122, v127, v137
	;; [unrolled: 1-line block ×3, first 2 shown]
	v_and_b32_e32 v120, 0xf0f0f0f, v120
	v_and_b32_e32 v147, 0x100000, v147
	;; [unrolled: 1-line block ×3, first 2 shown]
	v_or3_b32 v126, v126, v142, v143
	v_mul_f32_e32 v129, v3, v136
	v_dot4c_i32_i8_e32 v123, v127, v6
	v_dot4c_i32_i8_e32 v128, v125, v7
	v_and_b32_e32 v145, 16, v145
	v_and_b32_e32 v146, 0x1000, v146
	v_or3_b32 v121, v121, v120, v147
	v_dot4c_i32_i8_e32 v130, v126, v8
	v_mul_f32_e32 v126, 0x3e000000, v129
	v_cvt_f32_i32_e32 v129, v123
	v_cvt_f32_i32_e32 v128, v128
	v_or3_b32 v121, v121, v145, v146
	v_mul_f32_e32 v124, v1, v124
	v_dot4c_i32_i8_e32 v132, v121, v9
	v_mul_f32_e32 v120, v0, v131
	v_mul_f32_e32 v124, 0x3e000000, v124
	v_cvt_f32_i32_e32 v131, v130
	v_cvt_f32_i32_e32 v130, v132
	v_pk_fma_f32 v[120:121], v[120:121], v[128:129], v[124:125] op_sel_hi:[0,1,0]
	v_add_f32_e32 v121, 0, v121
	v_mul_f32_e32 v122, v2, v135
	v_add_f32_e32 v123, v120, v121
	v_pk_fma_f32 v[120:121], v[122:123], v[130:131], v[126:127] op_sel_hi:[0,1,0]
	v_add_f32_e32 v121, v123, v121
	v_add_f32_e32 v120, v120, v121
	ds_bpermute_b32 v121, v100, v120
	s_waitcnt lgkmcnt(0)
	v_add_f32_e32 v120, v120, v121
	ds_bpermute_b32 v121, v101, v120
	s_waitcnt lgkmcnt(0)
	v_add_f32_e32 v120, v120, v121
	s_cbranch_vccnz .LBB0_25
; %bb.24:                               ;   in Loop: Header=BB0_19 Depth=1
	global_load_ushort v121, v[12:13], off offset:-2
	s_waitcnt vmcnt(0)
	v_fma_mix_f32 v120, v95, v121, v120 op_sel_hi:[0,1,0]
.LBB0_25:                               ;   in Loop: Header=BB0_19 Depth=1
	v_lshl_add_u64 v[122:123], v[14:15], 0, s[48:49]
	v_lshl_add_u64 v[124:125], v[10:11], 0, s[48:49]
	global_load_dword v121, v[124:125], off offset:8
	global_load_dwordx2 v[126:127], v[122:123], off
	s_nop 0
	global_load_dword v124, v[124:125], off offset:32
	s_nop 0
	global_load_dwordx2 v[122:123], v[122:123], off offset:24
	v_mov_b32_e32 v125, 0
	v_mov_b32_e32 v129, 0
	;; [unrolled: 1-line block ×4, first 2 shown]
	s_and_b64 vcc, exec, s[12:13]
	s_waitcnt vmcnt(3)
	v_and_b32_e32 v128, 0xf0f0f0f, v121
	s_waitcnt vmcnt(2)
	v_ashrrev_i32_e32 v130, v4, v127
	v_ashrrev_i32_e32 v127, v107, v127
	v_lshrrev_b32_e32 v121, 4, v121
	s_waitcnt vmcnt(1)
	v_and_b32_e32 v133, 0xf0f0f0f, v124
	s_waitcnt vmcnt(0)
	v_cvt_f32_f16_e32 v136, v122
	v_cvt_f32_f16_sdwa v137, v122 dst_sel:DWORD dst_unused:UNUSED_PAD src0_sel:WORD_1
	v_lshrrev_b32_e32 v122, 4, v124
	v_lshlrev_b32_e32 v124, 4, v130
	v_lshlrev_b32_e32 v138, 11, v130
	;; [unrolled: 1-line block ×8, first 2 shown]
	v_cvt_f32_f16_e32 v131, v126
	v_ashrrev_i32_e32 v135, v4, v123
	v_ashrrev_i32_e32 v123, v107, v123
	v_and_b32_e32 v121, 0xf0f0f0f, v121
	v_and_b32_e32 v139, 0x100000, v139
	;; [unrolled: 1-line block ×5, first 2 shown]
	v_lshlrev_b32_e32 v143, 4, v135
	v_lshlrev_b32_e32 v144, 11, v135
	;; [unrolled: 1-line block ×8, first 2 shown]
	v_and_b32_e32 v124, 16, v124
	v_and_b32_e32 v138, 0x1000, v138
	;; [unrolled: 1-line block ×4, first 2 shown]
	v_or3_b32 v128, v130, v128, v139
	v_or3_b32 v121, v127, v121, v142
	v_cvt_f32_f16_sdwa v126, v126 dst_sel:DWORD dst_unused:UNUSED_PAD src0_sel:WORD_1
	v_and_b32_e32 v122, 0xf0f0f0f, v122
	v_and_b32_e32 v145, 0x100000, v145
	v_and_b32_e32 v135, 0x10000000, v135
	v_and_b32_e32 v148, 0x100000, v148
	v_and_b32_e32 v123, 0x10000000, v123
	v_or3_b32 v128, v128, v124, v138
	v_or3_b32 v121, v121, v140, v141
	v_and_b32_e32 v143, 16, v143
	v_and_b32_e32 v144, 0x1000, v144
	;; [unrolled: 1-line block ×4, first 2 shown]
	v_or3_b32 v127, v135, v133, v145
	v_or3_b32 v123, v123, v122, v148
	v_mul_f32_e32 v130, v3, v137
	v_dot4c_i32_i8_e32 v125, v128, v6
	v_dot4c_i32_i8_e32 v129, v121, v7
	v_mul_f32_e32 v122, v0, v131
	v_or3_b32 v127, v127, v143, v144
	v_or3_b32 v123, v123, v146, v147
	v_mul_f32_e32 v128, 0x3e000000, v130
	v_cvt_f32_i32_e32 v131, v125
	v_cvt_f32_i32_e32 v130, v129
	v_dot4c_i32_i8_e32 v132, v127, v8
	v_dot4c_i32_i8_e32 v134, v123, v9
	v_mul_f32_e32 v126, v1, v126
	v_mul_f32_e32 v126, 0x3e000000, v126
	v_cvt_f32_i32_e32 v133, v132
	v_cvt_f32_i32_e32 v132, v134
	v_pk_fma_f32 v[122:123], v[122:123], v[130:131], v[126:127] op_sel_hi:[0,1,0]
	v_mul_f32_e32 v124, v2, v136
	v_add_f32_e32 v121, 0, v123
	v_add_f32_e32 v121, v122, v121
	v_pk_fma_f32 v[122:123], v[124:125], v[132:133], v[128:129] op_sel_hi:[0,1,0]
	v_add_f32_e32 v121, v121, v123
	v_add_f32_e32 v121, v122, v121
	ds_bpermute_b32 v122, v100, v121
	s_waitcnt lgkmcnt(0)
	v_add_f32_e32 v121, v121, v122
	ds_bpermute_b32 v122, v101, v121
	s_waitcnt lgkmcnt(0)
	v_add_f32_e32 v121, v121, v122
	s_cbranch_vccnz .LBB0_27
; %bb.26:                               ;   in Loop: Header=BB0_19 Depth=1
	global_load_ushort v122, v[12:13], off
	s_waitcnt vmcnt(0)
	v_fma_mix_f32 v121, v95, v122, v121 op_sel_hi:[0,1,0]
.LBB0_27:                               ;   in Loop: Header=BB0_19 Depth=1
	v_lshl_add_u64 v[124:125], v[22:23], 0, s[26:27]
	v_lshl_add_u64 v[122:123], v[18:19], 0, s[26:27]
	global_load_dword v130, v[124:125], off
	s_nop 0
	global_load_dwordx2 v[124:125], v[122:123], off offset:-4
	v_add_f32_e32 v122, 0x40051340, v117
	v_add_f32_e32 v123, 0x40051340, v119
	;; [unrolled: 1-line block ×4, first 2 shown]
	v_max3_f32 v122, v118, v122, v123
	v_max3_f32 v122, v122, v126, v127
	ds_bpermute_b32 v123, v102, v122
	v_cndmask_b32_e64 v115, v115, v117, s[6:7]
	v_cndmask_b32_e64 v115, v115, v119, s[8:9]
	;; [unrolled: 1-line block ×3, first 2 shown]
	v_lshl_add_u64 v[126:127], v[28:29], 0, s[26:27]
	s_waitcnt lgkmcnt(0)
	v_max_f32_e32 v117, v123, v123
	v_max_f32_e32 v117, v122, v117
	ds_bpermute_b32 v131, v103, v117
	v_cndmask_b32_e64 v115, v115, v121, s[4:5]
	v_lshl_add_u64 v[122:123], v[26:27], 0, s[26:27]
	v_lshl_add_u64 v[128:129], v[32:33], 0, s[26:27]
	s_add_i32 s16, s16, s46
	s_waitcnt lgkmcnt(0)
	v_max_f32_e32 v119, v131, v131
	v_max_f32_e32 v117, v117, v119
	ds_bpermute_b32 v119, v104, v117
	global_load_dword v131, v[126:127], off
	s_nop 0
	global_load_dwordx2 v[126:127], v[122:123], off
	v_lshl_add_u64 v[10:11], v[10:11], 0, s[50:51]
	global_load_dwordx2 v[128:129], v[128:129], off
	v_lshl_add_u64 v[12:13], v[12:13], 0, s[22:23]
	s_waitcnt lgkmcnt(0)
	v_max_f32_e32 v119, v119, v119
	v_max_f32_e32 v117, v117, v119
	v_sub_f32_e32 v120, v118, v117
	v_sub_f32_e32 v115, v115, v117
	v_mul_f32_e32 v118, 0x3fb8aa3b, v120
	v_mul_f32_e32 v119, 0x3fb8aa3b, v115
	v_fma_f32 v121, v120, s18, -v118
	v_rndne_f32_e32 v122, v118
	v_fma_f32 v123, v115, s18, -v119
	v_rndne_f32_e32 v132, v119
	v_fmac_f32_e32 v121, 0x32a5705f, v120
	v_sub_f32_e32 v118, v118, v122
	v_fmac_f32_e32 v123, 0x32a5705f, v115
	v_sub_f32_e32 v119, v119, v132
	v_add_f32_e32 v118, v118, v121
	v_cvt_i32_f32_e32 v122, v122
	v_add_f32_e32 v119, v119, v123
	v_exp_f32_e32 v121, v118
	v_cvt_i32_f32_e32 v132, v132
	v_exp_f32_e32 v123, v119
	v_lshl_add_u64 v[118:119], v[36:37], 0, s[26:27]
	global_load_dword v133, v[118:119], off
	v_ldexp_f32 v118, v121, v122
	v_cmp_ngt_f32_e32 vcc, s19, v120
	v_ldexp_f32 v119, v123, v132
	v_lshl_add_u64 v[14:15], v[14:15], 0, s[50:51]
	v_cndmask_b32_e32 v118, 0, v118, vcc
	v_cmp_ngt_f32_e32 vcc, s19, v115
	v_lshl_add_u64 v[16:17], v[16:17], 0, s[50:51]
	v_lshl_add_u64 v[18:19], v[18:19], 0, s[38:39]
	v_cndmask_b32_e32 v119, 0, v119, vcc
	v_cmp_nlt_f32_e32 vcc, s20, v120
	v_lshl_add_u64 v[20:21], v[20:21], 0, s[50:51]
	v_lshl_add_u64 v[22:23], v[22:23], 0, s[38:39]
	v_cndmask_b32_e32 v118, v113, v118, vcc
	v_cmp_nlt_f32_e32 vcc, s20, v115
	v_lshl_add_u64 v[24:25], v[24:25], 0, s[50:51]
	v_lshl_add_u64 v[26:27], v[26:27], 0, s[38:39]
	v_cndmask_b32_e32 v115, v113, v119, vcc
	v_cvt_f16_f32_e32 v120, v115
	v_cvt_f16_f32_e32 v119, v118
	v_fma_f32 v99, v99, v118, v115
	v_lshl_add_u64 v[28:29], v[28:29], 0, s[38:39]
	ds_write_b16 v96, v120
	v_mul_u32_u24_e32 v118, 0x10001, v119
	v_pk_mul_f16 v116, v116, v118
	v_pk_mul_f16 v5, v5, v118
	ds_read_u16 v119, v105
	ds_read_u16 v132, v105 offset:16
	ds_read_u16 v122, v105 offset:32
	;; [unrolled: 1-line block ×7, first 2 shown]
	s_waitcnt lgkmcnt(7)
	v_mul_u32_u24_e32 v119, 0x10001, v119
	s_waitcnt lgkmcnt(3)
	v_mul_u32_u24_e32 v134, 0x10001, v134
	v_mul_u32_u24_e32 v132, 0x10001, v132
	;; [unrolled: 1-line block ×4, first 2 shown]
	s_waitcnt vmcnt(5)
	v_ashrrev_i32_e32 v120, v109, v130
	s_waitcnt vmcnt(4)
	v_lshrrev_b32_e32 v121, v108, v125
	v_lshrrev_b32_e32 v123, v110, v125
	;; [unrolled: 1-line block ×3, first 2 shown]
	v_and_b32_e32 v120, 0xf0f0f0f, v120
	v_lshlrev_b32_e32 v121, 4, v121
	v_lshrrev_b32_e32 v125, v112, v125
	v_lshlrev_b32_e32 v123, 12, v123
	v_lshlrev_b32_e32 v130, 20, v130
	v_and_or_b32 v120, v121, 16, v120
	v_lshlrev_b32_e32 v125, 28, v125
	v_and_or_b32 v121, v123, s17, v120
	v_and_b32_e32 v123, 0x100000, v130
	v_and_b32_e32 v125, 0x10000000, v125
	v_or3_b32 v123, v123, v125, v121
	v_lshrrev_b32_e32 v121, 8, v121
	v_and_b32_e32 v120, 31, v120
	v_and_b32_e32 v121, 31, v121
	v_cvt_f16_u16_e32 v120, v120
	v_cvt_f16_u16_e32 v121, v121
	v_pack_b32_f16 v120, v120, v121
	v_and_b32_sdwa v121, v123, v114 dst_sel:DWORD dst_unused:UNUSED_PAD src0_sel:WORD_1 src1_sel:DWORD
	v_cvt_f16_u16_sdwa v123, v123 dst_sel:DWORD dst_unused:UNUSED_PAD src0_sel:BYTE_3
	v_cvt_f16_u16_e32 v121, v121
	v_mul_u32_u24_sdwa v125, v124, s21 dst_sel:DWORD dst_unused:UNUSED_PAD src0_sel:WORD_0 src1_sel:DWORD
	v_mul_u32_u24_sdwa v124, v124, s21 dst_sel:DWORD dst_unused:UNUSED_PAD src0_sel:WORD_1 src1_sel:DWORD
	v_pack_b32_f16 v121, v121, v123
	v_pk_fma_f16 v120, v120, v125, v124
	v_pk_fma_f16 v121, v121, v125, v124
	v_lshl_add_u64 v[124:125], v[44:45], 0, s[26:27]
	v_pk_fma_f16 v130, v120, v119, v116
	v_pk_fma_f16 v138, v121, v119, v5
	v_lshl_add_u64 v[120:121], v[40:41], 0, s[26:27]
	global_load_dword v139, v[124:125], off
	s_nop 0
	global_load_dwordx2 v[124:125], v[120:121], off
	s_waitcnt vmcnt(5)
	v_ashrrev_i32_e32 v131, v109, v131
	s_waitcnt vmcnt(4)
	v_lshrrev_b32_e32 v142, v108, v127
	v_and_b32_e32 v131, 0xf0f0f0f, v131
	v_lshlrev_b32_e32 v142, 4, v142
	v_and_or_b32 v131, v142, 16, v131
	v_lshrrev_b32_e32 v142, v110, v127
	v_lshrrev_b32_e32 v143, v111, v127
	;; [unrolled: 1-line block ×3, first 2 shown]
	v_lshlrev_b32_e32 v142, 12, v142
	v_lshlrev_b32_e32 v143, 20, v143
	;; [unrolled: 1-line block ×3, first 2 shown]
	v_and_or_b32 v142, v142, s17, v131
	v_and_b32_e32 v143, 0x100000, v143
	v_and_b32_e32 v127, 0x10000000, v127
	v_or3_b32 v127, v143, v127, v142
	v_lshrrev_b32_e32 v142, 8, v142
	v_and_b32_e32 v131, 31, v131
	v_and_b32_e32 v142, 31, v142
	v_mul_u32_u24_sdwa v143, v126, s21 dst_sel:DWORD dst_unused:UNUSED_PAD src0_sel:WORD_0 src1_sel:DWORD
	v_mul_u32_u24_sdwa v144, v126, s21 dst_sel:DWORD dst_unused:UNUSED_PAD src0_sel:WORD_1 src1_sel:DWORD
	v_cvt_f16_u16_e32 v126, v131
	v_cvt_f16_u16_e32 v131, v142
	v_pack_b32_f16 v126, v126, v131
	v_pk_fma_f16 v131, v126, v143, v144
	v_and_b32_sdwa v126, v127, v114 dst_sel:DWORD dst_unused:UNUSED_PAD src0_sel:WORD_1 src1_sel:DWORD
	v_cvt_f16_u16_sdwa v142, v127 dst_sel:DWORD dst_unused:UNUSED_PAD src0_sel:BYTE_3
	v_cvt_f16_u16_e32 v145, v126
	v_lshl_add_u64 v[126:127], v[56:57], 0, s[26:27]
	ds_read_u16 v140, v106 offset:24
	ds_read_u16 v141, v106 offset:28
	;; [unrolled: 1-line block ×8, first 2 shown]
	global_load_dword v146, v[126:127], off
	v_lshl_add_u64 v[126:127], v[50:51], 0, s[26:27]
	global_load_dwordx2 v[126:127], v[126:127], off
	v_pack_b32_f16 v142, v145, v142
	v_pk_fma_f16 v142, v142, v143, v144
	v_pk_fma_f16 v130, v131, v134, v130
	;; [unrolled: 1-line block ×3, first 2 shown]
	s_waitcnt lgkmcnt(10)
	v_mul_u32_u24_e32 v134, 0x10001, v135
	s_waitcnt vmcnt(4)
	v_ashrrev_i32_e32 v133, v109, v133
	v_lshrrev_b32_e32 v135, v108, v129
	v_and_b32_e32 v133, 0xf0f0f0f, v133
	v_lshlrev_b32_e32 v135, 4, v135
	v_and_or_b32 v133, v135, 16, v133
	v_lshrrev_b32_e32 v135, v110, v129
	v_lshrrev_b32_e32 v138, v111, v129
	v_lshrrev_b32_e32 v129, v112, v129
	v_lshlrev_b32_e32 v135, 12, v135
	v_lshlrev_b32_e32 v138, 20, v138
	;; [unrolled: 1-line block ×3, first 2 shown]
	v_and_or_b32 v135, v135, s17, v133
	v_and_b32_e32 v138, 0x100000, v138
	v_and_b32_e32 v129, 0x10000000, v129
	v_or3_b32 v129, v138, v129, v135
	v_lshrrev_b32_e32 v135, 8, v135
	v_and_b32_e32 v133, 31, v133
	v_and_b32_e32 v135, 31, v135
	v_mul_u32_u24_sdwa v138, v128, s21 dst_sel:DWORD dst_unused:UNUSED_PAD src0_sel:WORD_0 src1_sel:DWORD
	v_mul_u32_u24_sdwa v142, v128, s21 dst_sel:DWORD dst_unused:UNUSED_PAD src0_sel:WORD_1 src1_sel:DWORD
	v_cvt_f16_u16_e32 v128, v133
	v_cvt_f16_u16_e32 v133, v135
	v_pack_b32_f16 v128, v128, v133
	v_pk_fma_f16 v133, v128, v138, v142
	v_and_b32_sdwa v128, v129, v114 dst_sel:DWORD dst_unused:UNUSED_PAD src0_sel:WORD_1 src1_sel:DWORD
	v_cvt_f16_u16_sdwa v135, v129 dst_sel:DWORD dst_unused:UNUSED_PAD src0_sel:BYTE_3
	v_cvt_f16_u16_e32 v143, v128
	v_lshl_add_u64 v[128:129], v[68:69], 0, s[26:27]
	global_load_dword v144, v[128:129], off
	v_lshl_add_u64 v[128:129], v[62:63], 0, s[26:27]
	global_load_dwordx2 v[128:129], v[128:129], off
	v_pack_b32_f16 v135, v143, v135
	v_pk_fma_f16 v135, v135, v138, v142
	v_pk_fma_f16 v130, v133, v134, v130
	;; [unrolled: 1-line block ×3, first 2 shown]
	s_waitcnt lgkmcnt(9)
	v_mul_u32_u24_e32 v133, 0x10001, v136
	s_waitcnt lgkmcnt(4)
	v_mul_u32_u24_e32 v121, 0x10001, v121
	;; [unrolled: 2-line block ×5, first 2 shown]
	v_lshl_add_u64 v[30:31], v[30:31], 0, s[50:51]
	s_waitcnt vmcnt(5)
	v_ashrrev_i32_e32 v134, v109, v139
	s_waitcnt vmcnt(4)
	v_lshrrev_b32_e32 v135, v108, v125
	v_and_b32_e32 v134, 0xf0f0f0f, v134
	v_lshlrev_b32_e32 v135, 4, v135
	v_and_or_b32 v134, v135, 16, v134
	v_lshrrev_b32_e32 v135, v110, v125
	v_lshrrev_b32_e32 v136, v111, v125
	;; [unrolled: 1-line block ×3, first 2 shown]
	v_lshlrev_b32_e32 v135, 12, v135
	v_lshlrev_b32_e32 v136, 20, v136
	;; [unrolled: 1-line block ×3, first 2 shown]
	v_and_or_b32 v135, v135, s17, v134
	v_and_b32_e32 v136, 0x100000, v136
	v_and_b32_e32 v125, 0x10000000, v125
	v_or3_b32 v125, v136, v125, v135
	v_lshrrev_b32_e32 v135, 8, v135
	v_and_b32_e32 v134, 31, v134
	v_and_b32_e32 v135, 31, v135
	v_mul_u32_u24_sdwa v136, v124, s21 dst_sel:DWORD dst_unused:UNUSED_PAD src0_sel:WORD_0 src1_sel:DWORD
	v_mul_u32_u24_sdwa v138, v124, s21 dst_sel:DWORD dst_unused:UNUSED_PAD src0_sel:WORD_1 src1_sel:DWORD
	v_cvt_f16_u16_e32 v124, v134
	v_cvt_f16_u16_e32 v134, v135
	v_pack_b32_f16 v124, v124, v134
	v_pk_fma_f16 v134, v124, v136, v138
	v_and_b32_sdwa v124, v125, v114 dst_sel:DWORD dst_unused:UNUSED_PAD src0_sel:WORD_1 src1_sel:DWORD
	v_cvt_f16_u16_sdwa v135, v125 dst_sel:DWORD dst_unused:UNUSED_PAD src0_sel:BYTE_3
	v_cvt_f16_u16_e32 v139, v124
	v_lshl_add_u64 v[124:125], v[80:81], 0, s[26:27]
	global_load_dword v142, v[124:125], off
	v_lshl_add_u64 v[124:125], v[74:75], 0, s[26:27]
	global_load_dwordx2 v[124:125], v[124:125], off
	v_pack_b32_f16 v135, v139, v135
	v_pk_fma_f16 v135, v135, v136, v138
	v_pk_fma_f16 v130, v134, v133, v130
	;; [unrolled: 1-line block ×3, first 2 shown]
	s_waitcnt vmcnt(5)
	v_ashrrev_i32_e32 v133, v109, v146
	s_waitcnt vmcnt(4)
	v_lshrrev_b32_e32 v134, v108, v127
	v_and_b32_e32 v133, 0xf0f0f0f, v133
	v_lshlrev_b32_e32 v134, 4, v134
	v_and_or_b32 v133, v134, 16, v133
	v_lshrrev_b32_e32 v134, v110, v127
	v_lshrrev_b32_e32 v135, v111, v127
	;; [unrolled: 1-line block ×3, first 2 shown]
	v_lshlrev_b32_e32 v134, 12, v134
	v_lshlrev_b32_e32 v135, 20, v135
	;; [unrolled: 1-line block ×3, first 2 shown]
	v_and_or_b32 v134, v134, s17, v133
	v_and_b32_e32 v135, 0x100000, v135
	v_and_b32_e32 v127, 0x10000000, v127
	v_or3_b32 v127, v135, v127, v134
	v_lshrrev_b32_e32 v134, 8, v134
	v_and_b32_e32 v133, 31, v133
	v_and_b32_e32 v134, 31, v134
	v_mul_u32_u24_sdwa v135, v126, s21 dst_sel:DWORD dst_unused:UNUSED_PAD src0_sel:WORD_0 src1_sel:DWORD
	v_mul_u32_u24_sdwa v136, v126, s21 dst_sel:DWORD dst_unused:UNUSED_PAD src0_sel:WORD_1 src1_sel:DWORD
	v_cvt_f16_u16_e32 v126, v133
	v_cvt_f16_u16_e32 v133, v134
	v_pack_b32_f16 v126, v126, v133
	v_pk_fma_f16 v133, v126, v135, v136
	v_and_b32_sdwa v126, v127, v114 dst_sel:DWORD dst_unused:UNUSED_PAD src0_sel:WORD_1 src1_sel:DWORD
	v_cvt_f16_u16_sdwa v134, v127 dst_sel:DWORD dst_unused:UNUSED_PAD src0_sel:BYTE_3
	v_cvt_f16_u16_e32 v138, v126
	v_lshl_add_u64 v[126:127], v[90:91], 0, s[26:27]
	global_load_dword v139, v[126:127], off
	v_lshl_add_u64 v[126:127], v[86:87], 0, s[26:27]
	global_load_dwordx2 v[126:127], v[126:127], off
	v_pack_b32_f16 v134, v138, v134
	v_pk_fma_f16 v134, v134, v135, v136
	v_pk_fma_f16 v130, v133, v132, v130
	;; [unrolled: 1-line block ×3, first 2 shown]
	s_waitcnt vmcnt(5)
	v_ashrrev_i32_e32 v133, v109, v144
	s_waitcnt vmcnt(4)
	v_lshrrev_b32_e32 v134, v108, v129
	v_and_b32_e32 v133, 0xf0f0f0f, v133
	v_lshlrev_b32_e32 v134, 4, v134
	v_and_or_b32 v133, v134, 16, v133
	v_lshrrev_b32_e32 v134, v110, v129
	v_lshrrev_b32_e32 v135, v111, v129
	;; [unrolled: 1-line block ×3, first 2 shown]
	v_lshlrev_b32_e32 v134, 12, v134
	v_lshlrev_b32_e32 v135, 20, v135
	;; [unrolled: 1-line block ×3, first 2 shown]
	v_and_or_b32 v134, v134, s17, v133
	v_and_b32_e32 v135, 0x100000, v135
	v_and_b32_e32 v129, 0x10000000, v129
	v_or3_b32 v129, v135, v129, v134
	v_lshrrev_b32_e32 v134, 8, v134
	v_and_b32_e32 v133, 31, v133
	v_and_b32_e32 v134, 31, v134
	v_mul_u32_u24_sdwa v135, v128, s21 dst_sel:DWORD dst_unused:UNUSED_PAD src0_sel:WORD_0 src1_sel:DWORD
	v_mul_u32_u24_sdwa v136, v128, s21 dst_sel:DWORD dst_unused:UNUSED_PAD src0_sel:WORD_1 src1_sel:DWORD
	v_cvt_f16_u16_e32 v128, v133
	v_cvt_f16_u16_e32 v133, v134
	v_pack_b32_f16 v128, v128, v133
	v_pk_fma_f16 v133, v128, v135, v136
	v_and_b32_sdwa v128, v129, v114 dst_sel:DWORD dst_unused:UNUSED_PAD src0_sel:WORD_1 src1_sel:DWORD
	v_mul_u32_u24_e32 v132, 0x10001, v137
	v_cvt_f16_u16_sdwa v134, v129 dst_sel:DWORD dst_unused:UNUSED_PAD src0_sel:BYTE_3
	v_cvt_f16_u16_e32 v137, v128
	v_lshl_add_u64 v[128:129], v[84:85], 0, s[26:27]
	global_load_dword v138, v[128:129], off
	v_lshl_add_u64 v[128:129], v[88:89], 0, s[26:27]
	global_load_dwordx2 v[128:129], v[128:129], off offset:-4
	v_pack_b32_f16 v134, v137, v134
	v_pk_fma_f16 v134, v134, v135, v136
	v_pk_fma_f16 v130, v133, v132, v130
	;; [unrolled: 1-line block ×3, first 2 shown]
	v_mul_u32_u24_e32 v132, 0x10001, v140
	v_lshl_add_u64 v[32:33], v[32:33], 0, s[38:39]
	s_waitcnt vmcnt(5)
	v_ashrrev_i32_e32 v133, v109, v142
	v_and_b32_e32 v133, 0xf0f0f0f, v133
	s_waitcnt vmcnt(4)
	v_lshrrev_b32_e32 v134, v108, v125
	v_lshlrev_b32_e32 v134, 4, v134
	v_and_or_b32 v133, v134, 16, v133
	v_lshrrev_b32_e32 v134, v110, v125
	v_lshrrev_b32_e32 v135, v111, v125
	;; [unrolled: 1-line block ×3, first 2 shown]
	v_lshlrev_b32_e32 v134, 12, v134
	v_lshlrev_b32_e32 v135, 20, v135
	;; [unrolled: 1-line block ×3, first 2 shown]
	v_and_or_b32 v134, v134, s17, v133
	v_and_b32_e32 v135, 0x100000, v135
	v_and_b32_e32 v125, 0x10000000, v125
	v_or3_b32 v125, v135, v125, v134
	v_lshrrev_b32_e32 v134, 8, v134
	v_and_b32_e32 v133, 31, v133
	v_and_b32_e32 v134, 31, v134
	v_mul_u32_u24_sdwa v135, v124, s21 dst_sel:DWORD dst_unused:UNUSED_PAD src0_sel:WORD_0 src1_sel:DWORD
	v_mul_u32_u24_sdwa v136, v124, s21 dst_sel:DWORD dst_unused:UNUSED_PAD src0_sel:WORD_1 src1_sel:DWORD
	v_cvt_f16_u16_e32 v124, v133
	v_cvt_f16_u16_e32 v133, v134
	v_pack_b32_f16 v124, v124, v133
	v_pk_fma_f16 v133, v124, v135, v136
	v_and_b32_sdwa v124, v125, v114 dst_sel:DWORD dst_unused:UNUSED_PAD src0_sel:WORD_1 src1_sel:DWORD
	v_cvt_f16_u16_sdwa v134, v125 dst_sel:DWORD dst_unused:UNUSED_PAD src0_sel:BYTE_3
	v_cvt_f16_u16_e32 v137, v124
	v_lshl_add_u64 v[124:125], v[78:79], 0, s[26:27]
	global_load_dword v140, v[124:125], off
	v_lshl_add_u64 v[124:125], v[82:83], 0, s[26:27]
	global_load_dwordx2 v[124:125], v[124:125], off offset:-4
	v_pack_b32_f16 v134, v137, v134
	v_pk_fma_f16 v134, v134, v135, v136
	v_pk_fma_f16 v130, v133, v132, v130
	;; [unrolled: 1-line block ×3, first 2 shown]
	s_waitcnt vmcnt(5)
	v_ashrrev_i32_e32 v133, v109, v139
	v_and_b32_e32 v133, 0xf0f0f0f, v133
	s_waitcnt vmcnt(4)
	v_lshrrev_b32_e32 v134, v108, v127
	v_lshlrev_b32_e32 v134, 4, v134
	v_and_or_b32 v133, v134, 16, v133
	v_lshrrev_b32_e32 v134, v110, v127
	v_lshrrev_b32_e32 v135, v111, v127
	;; [unrolled: 1-line block ×3, first 2 shown]
	v_lshlrev_b32_e32 v134, 12, v134
	v_lshlrev_b32_e32 v135, 20, v135
	;; [unrolled: 1-line block ×3, first 2 shown]
	v_and_or_b32 v134, v134, s17, v133
	v_and_b32_e32 v135, 0x100000, v135
	v_and_b32_e32 v127, 0x10000000, v127
	v_or3_b32 v127, v135, v127, v134
	v_lshrrev_b32_e32 v134, 8, v134
	v_and_b32_e32 v133, 31, v133
	v_and_b32_e32 v134, 31, v134
	v_mul_u32_u24_sdwa v135, v126, s21 dst_sel:DWORD dst_unused:UNUSED_PAD src0_sel:WORD_0 src1_sel:DWORD
	v_mul_u32_u24_sdwa v136, v126, s21 dst_sel:DWORD dst_unused:UNUSED_PAD src0_sel:WORD_1 src1_sel:DWORD
	v_cvt_f16_u16_e32 v126, v133
	v_cvt_f16_u16_e32 v133, v134
	v_pack_b32_f16 v126, v126, v133
	v_pk_fma_f16 v133, v126, v135, v136
	v_and_b32_sdwa v126, v127, v114 dst_sel:DWORD dst_unused:UNUSED_PAD src0_sel:WORD_1 src1_sel:DWORD
	v_cvt_f16_u16_sdwa v134, v127 dst_sel:DWORD dst_unused:UNUSED_PAD src0_sel:BYTE_3
	v_cvt_f16_u16_e32 v137, v126
	v_lshl_add_u64 v[126:127], v[72:73], 0, s[26:27]
	global_load_dword v139, v[126:127], off
	v_lshl_add_u64 v[126:127], v[76:77], 0, s[26:27]
	global_load_dwordx2 v[126:127], v[126:127], off offset:-4
	v_pack_b32_f16 v134, v137, v134
	v_mul_u32_u24_e32 v132, 0x10001, v141
	v_pk_fma_f16 v134, v134, v135, v136
	v_pk_fma_f16 v130, v133, v132, v130
	;; [unrolled: 1-line block ×3, first 2 shown]
	s_waitcnt vmcnt(5)
	v_ashrrev_i32_e32 v132, v109, v138
	v_and_b32_e32 v132, 0xf0f0f0f, v132
	s_waitcnt vmcnt(4)
	v_lshrrev_b32_e32 v133, v108, v129
	v_lshlrev_b32_e32 v133, 4, v133
	v_and_or_b32 v132, v133, 16, v132
	v_lshrrev_b32_e32 v133, v110, v129
	v_lshrrev_b32_e32 v134, v111, v129
	;; [unrolled: 1-line block ×3, first 2 shown]
	v_lshlrev_b32_e32 v133, 12, v133
	v_lshlrev_b32_e32 v134, 20, v134
	;; [unrolled: 1-line block ×3, first 2 shown]
	v_and_or_b32 v133, v133, s17, v132
	v_and_b32_e32 v134, 0x100000, v134
	v_and_b32_e32 v129, 0x10000000, v129
	v_or3_b32 v129, v134, v129, v133
	v_lshrrev_b32_e32 v133, 8, v133
	v_and_b32_e32 v132, 31, v132
	v_and_b32_e32 v133, 31, v133
	v_mul_u32_u24_sdwa v134, v128, s21 dst_sel:DWORD dst_unused:UNUSED_PAD src0_sel:WORD_0 src1_sel:DWORD
	v_mul_u32_u24_sdwa v135, v128, s21 dst_sel:DWORD dst_unused:UNUSED_PAD src0_sel:WORD_1 src1_sel:DWORD
	v_cvt_f16_u16_e32 v128, v132
	v_cvt_f16_u16_e32 v132, v133
	v_pack_b32_f16 v128, v128, v132
	v_pk_fma_f16 v132, v128, v134, v135
	v_and_b32_sdwa v128, v129, v114 dst_sel:DWORD dst_unused:UNUSED_PAD src0_sel:WORD_1 src1_sel:DWORD
	v_cvt_f16_u16_sdwa v133, v129 dst_sel:DWORD dst_unused:UNUSED_PAD src0_sel:BYTE_3
	v_cvt_f16_u16_e32 v136, v128
	v_lshl_add_u64 v[128:129], v[66:67], 0, s[26:27]
	global_load_dword v137, v[128:129], off
	v_lshl_add_u64 v[128:129], v[70:71], 0, s[26:27]
	global_load_dwordx2 v[128:129], v[128:129], off offset:-4
	v_pack_b32_f16 v133, v136, v133
	v_pk_fma_f16 v133, v133, v134, v135
	v_pk_fma_f16 v130, v132, v122, v130
	;; [unrolled: 1-line block ×3, first 2 shown]
	v_mul_u32_u24_e32 v132, 0x10001, v123
	v_lshl_add_u64 v[34:35], v[34:35], 0, s[50:51]
	s_waitcnt vmcnt(5)
	v_ashrrev_i32_e32 v122, v109, v140
	v_and_b32_e32 v122, 0xf0f0f0f, v122
	s_waitcnt vmcnt(4)
	v_lshrrev_b32_e32 v123, v108, v125
	v_lshlrev_b32_e32 v123, 4, v123
	v_and_or_b32 v122, v123, 16, v122
	v_lshrrev_b32_e32 v123, v110, v125
	v_lshrrev_b32_e32 v133, v111, v125
	;; [unrolled: 1-line block ×3, first 2 shown]
	v_lshlrev_b32_e32 v123, 12, v123
	v_lshlrev_b32_e32 v133, 20, v133
	;; [unrolled: 1-line block ×3, first 2 shown]
	v_and_or_b32 v123, v123, s17, v122
	v_and_b32_e32 v133, 0x100000, v133
	v_and_b32_e32 v125, 0x10000000, v125
	v_or3_b32 v125, v133, v125, v123
	v_lshrrev_b32_e32 v123, 8, v123
	v_and_b32_e32 v122, 31, v122
	v_and_b32_e32 v123, 31, v123
	v_cvt_f16_u16_e32 v122, v122
	v_cvt_f16_u16_e32 v123, v123
	v_mul_u32_u24_sdwa v133, v124, s21 dst_sel:DWORD dst_unused:UNUSED_PAD src0_sel:WORD_0 src1_sel:DWORD
	v_mul_u32_u24_sdwa v124, v124, s21 dst_sel:DWORD dst_unused:UNUSED_PAD src0_sel:WORD_1 src1_sel:DWORD
	v_pack_b32_f16 v122, v122, v123
	v_pk_fma_f16 v134, v122, v133, v124
	v_and_b32_sdwa v122, v125, v114 dst_sel:DWORD dst_unused:UNUSED_PAD src0_sel:WORD_1 src1_sel:DWORD
	v_cvt_f16_u16_e32 v135, v122
	v_lshl_add_u64 v[122:123], v[60:61], 0, s[26:27]
	global_load_dword v136, v[122:123], off
	v_lshl_add_u64 v[122:123], v[64:65], 0, s[26:27]
	global_load_dwordx2 v[122:123], v[122:123], off offset:-4
	v_cvt_f16_u16_sdwa v125, v125 dst_sel:DWORD dst_unused:UNUSED_PAD src0_sel:BYTE_3
	v_pack_b32_f16 v125, v135, v125
	v_pk_fma_f16 v124, v125, v133, v124
	v_pk_fma_f16 v130, v134, v132, v130
	;; [unrolled: 1-line block ×3, first 2 shown]
	s_waitcnt vmcnt(5)
	v_ashrrev_i32_e32 v124, v109, v139
	v_and_b32_e32 v124, 0xf0f0f0f, v124
	s_waitcnt vmcnt(4)
	v_lshrrev_b32_e32 v125, v108, v127
	v_lshlrev_b32_e32 v125, 4, v125
	v_and_or_b32 v124, v125, 16, v124
	v_lshrrev_b32_e32 v125, v110, v127
	v_lshrrev_b32_e32 v132, v111, v127
	;; [unrolled: 1-line block ×3, first 2 shown]
	v_lshlrev_b32_e32 v125, 12, v125
	v_lshlrev_b32_e32 v132, 20, v132
	;; [unrolled: 1-line block ×3, first 2 shown]
	v_and_or_b32 v125, v125, s17, v124
	v_and_b32_e32 v132, 0x100000, v132
	v_and_b32_e32 v127, 0x10000000, v127
	v_or3_b32 v127, v132, v127, v125
	v_lshrrev_b32_e32 v125, 8, v125
	v_and_b32_e32 v124, 31, v124
	v_and_b32_e32 v125, 31, v125
	v_cvt_f16_u16_e32 v124, v124
	v_cvt_f16_u16_e32 v125, v125
	v_mul_u32_u24_sdwa v132, v126, s21 dst_sel:DWORD dst_unused:UNUSED_PAD src0_sel:WORD_0 src1_sel:DWORD
	v_mul_u32_u24_sdwa v126, v126, s21 dst_sel:DWORD dst_unused:UNUSED_PAD src0_sel:WORD_1 src1_sel:DWORD
	v_pack_b32_f16 v124, v124, v125
	v_pk_fma_f16 v133, v124, v132, v126
	v_and_b32_sdwa v124, v127, v114 dst_sel:DWORD dst_unused:UNUSED_PAD src0_sel:WORD_1 src1_sel:DWORD
	v_cvt_f16_u16_e32 v134, v124
	v_lshl_add_u64 v[124:125], v[54:55], 0, s[26:27]
	v_cvt_f16_u16_sdwa v127, v127 dst_sel:DWORD dst_unused:UNUSED_PAD src0_sel:BYTE_3
	global_load_dword v135, v[124:125], off
	v_lshl_add_u64 v[124:125], v[58:59], 0, s[26:27]
	global_load_dwordx2 v[124:125], v[124:125], off offset:-4
	v_pack_b32_f16 v127, v134, v127
	v_pk_fma_f16 v126, v127, v132, v126
	v_pk_fma_f16 v127, v133, v121, v130
	;; [unrolled: 1-line block ×3, first 2 shown]
	v_mul_u32_u24_e32 v130, 0x10001, v120
	s_waitcnt vmcnt(5)
	v_ashrrev_i32_e32 v120, v109, v137
	v_and_b32_e32 v120, 0xf0f0f0f, v120
	s_waitcnt vmcnt(4)
	v_lshrrev_b32_e32 v121, v108, v129
	v_lshlrev_b32_e32 v121, 4, v121
	v_and_or_b32 v120, v121, 16, v120
	v_lshrrev_b32_e32 v121, v110, v129
	v_lshrrev_b32_e32 v131, v111, v129
	;; [unrolled: 1-line block ×3, first 2 shown]
	v_lshlrev_b32_e32 v121, 12, v121
	v_lshlrev_b32_e32 v131, 20, v131
	;; [unrolled: 1-line block ×3, first 2 shown]
	v_and_or_b32 v121, v121, s17, v120
	v_and_b32_e32 v131, 0x100000, v131
	v_and_b32_e32 v129, 0x10000000, v129
	v_or3_b32 v129, v131, v129, v121
	v_lshrrev_b32_e32 v121, 8, v121
	v_and_b32_e32 v120, 31, v120
	v_and_b32_e32 v121, 31, v121
	v_cvt_f16_u16_e32 v120, v120
	v_cvt_f16_u16_e32 v121, v121
	v_pack_b32_f16 v132, v120, v121
	v_lshl_add_u64 v[120:121], v[48:49], 0, s[26:27]
	global_load_dword v133, v[120:121], off
	v_lshl_add_u64 v[120:121], v[52:53], 0, s[26:27]
	global_load_dwordx2 v[120:121], v[120:121], off offset:-4
	v_and_b32_sdwa v134, v129, v114 dst_sel:DWORD dst_unused:UNUSED_PAD src0_sel:WORD_1 src1_sel:DWORD
	v_cvt_f16_u16_sdwa v129, v129 dst_sel:DWORD dst_unused:UNUSED_PAD src0_sel:BYTE_3
	v_cvt_f16_u16_e32 v134, v134
	v_mul_u32_u24_sdwa v131, v128, s21 dst_sel:DWORD dst_unused:UNUSED_PAD src0_sel:WORD_0 src1_sel:DWORD
	v_mul_u32_u24_sdwa v128, v128, s21 dst_sel:DWORD dst_unused:UNUSED_PAD src0_sel:WORD_1 src1_sel:DWORD
	v_pack_b32_f16 v129, v134, v129
	v_pk_fma_f16 v132, v132, v131, v128
	v_pk_fma_f16 v128, v129, v131, v128
	;; [unrolled: 1-line block ×4, first 2 shown]
	v_lshl_add_u64 v[36:37], v[36:37], 0, s[38:39]
	s_waitcnt vmcnt(5)
	v_ashrrev_i32_e32 v126, v109, v136
	v_and_b32_e32 v126, 0xf0f0f0f, v126
	s_waitcnt vmcnt(4)
	v_lshrrev_b32_e32 v127, v108, v123
	v_lshlrev_b32_e32 v127, 4, v127
	v_and_or_b32 v126, v127, 16, v126
	v_lshrrev_b32_e32 v127, v110, v123
	v_lshrrev_b32_e32 v130, v111, v123
	;; [unrolled: 1-line block ×3, first 2 shown]
	v_lshlrev_b32_e32 v127, 12, v127
	v_lshlrev_b32_e32 v130, 20, v130
	;; [unrolled: 1-line block ×3, first 2 shown]
	v_and_or_b32 v127, v127, s17, v126
	v_and_b32_e32 v130, 0x100000, v130
	v_and_b32_e32 v123, 0x10000000, v123
	v_or3_b32 v123, v130, v123, v127
	v_and_b32_e32 v130, 31, v126
	v_lshrrev_b32_e32 v126, 8, v127
	v_and_b32_e32 v131, 31, v126
	v_lshl_add_u64 v[126:127], v[42:43], 0, s[26:27]
	global_load_dword v134, v[126:127], off
	v_lshl_add_u64 v[126:127], v[46:47], 0, s[26:27]
	global_load_dwordx2 v[126:127], v[126:127], off offset:-4
	v_cvt_f16_u16_e32 v130, v130
	v_cvt_f16_u16_e32 v131, v131
	v_pack_b32_f16 v130, v130, v131
	v_and_b32_sdwa v131, v123, v114 dst_sel:DWORD dst_unused:UNUSED_PAD src0_sel:WORD_1 src1_sel:DWORD
	v_cvt_f16_u16_sdwa v123, v123 dst_sel:DWORD dst_unused:UNUSED_PAD src0_sel:BYTE_3
	v_cvt_f16_u16_e32 v131, v131
	v_mul_u32_u24_sdwa v132, v122, s21 dst_sel:DWORD dst_unused:UNUSED_PAD src0_sel:WORD_0 src1_sel:DWORD
	v_mul_u32_u24_sdwa v122, v122, s21 dst_sel:DWORD dst_unused:UNUSED_PAD src0_sel:WORD_1 src1_sel:DWORD
	v_pack_b32_f16 v123, v131, v123
	v_pk_fma_f16 v130, v130, v132, v122
	v_pk_fma_f16 v122, v123, v132, v122
	v_pk_fma_f16 v123, v130, v118, v129
	v_pk_fma_f16 v118, v122, v118, v128
	v_lshl_add_u64 v[38:39], v[38:39], 0, s[50:51]
	s_waitcnt vmcnt(5)
	v_ashrrev_i32_e32 v122, v109, v135
	v_and_b32_e32 v122, 0xf0f0f0f, v122
	s_waitcnt vmcnt(4)
	v_lshrrev_b32_e32 v128, v108, v125
	v_lshlrev_b32_e32 v128, 4, v128
	v_and_or_b32 v122, v128, 16, v122
	v_lshrrev_b32_e32 v128, v110, v125
	v_lshrrev_b32_e32 v129, v111, v125
	;; [unrolled: 1-line block ×3, first 2 shown]
	v_lshlrev_b32_e32 v128, 12, v128
	v_lshlrev_b32_e32 v129, 20, v129
	;; [unrolled: 1-line block ×3, first 2 shown]
	v_and_or_b32 v128, v128, s17, v122
	v_and_b32_e32 v129, 0x100000, v129
	v_and_b32_e32 v125, 0x10000000, v125
	v_or3_b32 v125, v129, v125, v128
	v_lshrrev_b32_e32 v128, 8, v128
	v_and_b32_e32 v122, 31, v122
	v_and_b32_e32 v128, 31, v128
	v_cvt_f16_u16_e32 v122, v122
	v_cvt_f16_u16_e32 v128, v128
	v_pack_b32_f16 v122, v122, v128
	v_and_b32_sdwa v128, v125, v114 dst_sel:DWORD dst_unused:UNUSED_PAD src0_sel:WORD_1 src1_sel:DWORD
	v_cvt_f16_u16_sdwa v125, v125 dst_sel:DWORD dst_unused:UNUSED_PAD src0_sel:BYTE_3
	v_cvt_f16_u16_e32 v128, v128
	v_mul_u32_u24_sdwa v129, v124, s21 dst_sel:DWORD dst_unused:UNUSED_PAD src0_sel:WORD_0 src1_sel:DWORD
	v_mul_u32_u24_sdwa v124, v124, s21 dst_sel:DWORD dst_unused:UNUSED_PAD src0_sel:WORD_1 src1_sel:DWORD
	v_pack_b32_f16 v125, v128, v125
	v_pk_fma_f16 v122, v122, v129, v124
	v_pk_fma_f16 v124, v125, v129, v124
	;; [unrolled: 1-line block ×4, first 2 shown]
	s_waitcnt vmcnt(3)
	v_ashrrev_i32_e32 v119, v109, v133
	s_waitcnt vmcnt(2)
	v_lshrrev_b32_e32 v123, v108, v121
	v_and_b32_e32 v119, 0xf0f0f0f, v119
	v_lshlrev_b32_e32 v123, 4, v123
	v_and_or_b32 v119, v123, 16, v119
	v_lshrrev_b32_e32 v123, v110, v121
	v_lshrrev_b32_e32 v124, v111, v121
	;; [unrolled: 1-line block ×3, first 2 shown]
	v_lshlrev_b32_e32 v123, 12, v123
	v_lshlrev_b32_e32 v124, 20, v124
	;; [unrolled: 1-line block ×3, first 2 shown]
	v_and_or_b32 v123, v123, s17, v119
	v_and_b32_e32 v124, 0x100000, v124
	v_and_b32_e32 v121, 0x10000000, v121
	v_or3_b32 v121, v124, v121, v123
	v_lshrrev_b32_e32 v123, 8, v123
	v_and_b32_e32 v119, 31, v119
	v_and_b32_e32 v123, 31, v123
	v_cvt_f16_u16_e32 v119, v119
	v_cvt_f16_u16_e32 v123, v123
	v_pack_b32_f16 v119, v119, v123
	v_and_b32_sdwa v123, v121, v114 dst_sel:DWORD dst_unused:UNUSED_PAD src0_sel:WORD_1 src1_sel:DWORD
	v_cvt_f16_u16_sdwa v121, v121 dst_sel:DWORD dst_unused:UNUSED_PAD src0_sel:BYTE_3
	v_cvt_f16_u16_e32 v123, v123
	v_mul_u32_u24_sdwa v124, v120, s21 dst_sel:DWORD dst_unused:UNUSED_PAD src0_sel:WORD_0 src1_sel:DWORD
	v_mul_u32_u24_sdwa v120, v120, s21 dst_sel:DWORD dst_unused:UNUSED_PAD src0_sel:WORD_1 src1_sel:DWORD
	v_pack_b32_f16 v121, v123, v121
	v_pk_fma_f16 v119, v119, v124, v120
	v_pk_fma_f16 v120, v121, v124, v120
	;; [unrolled: 1-line block ×4, first 2 shown]
	v_lshl_add_u64 v[40:41], v[40:41], 0, s[38:39]
	s_waitcnt vmcnt(1)
	v_ashrrev_i32_e32 v116, v109, v134
	v_and_b32_e32 v116, 0xf0f0f0f, v116
	s_waitcnt vmcnt(0)
	v_lshrrev_b32_e32 v120, v108, v127
	v_lshlrev_b32_e32 v120, 4, v120
	v_and_or_b32 v116, v120, 16, v116
	v_lshrrev_b32_e32 v120, v110, v127
	v_lshrrev_b32_e32 v121, v111, v127
	;; [unrolled: 1-line block ×3, first 2 shown]
	v_lshlrev_b32_e32 v120, 12, v120
	v_lshlrev_b32_e32 v121, 20, v121
	;; [unrolled: 1-line block ×3, first 2 shown]
	v_and_or_b32 v120, v120, s17, v116
	v_and_b32_e32 v121, 0x100000, v121
	v_and_b32_e32 v122, 0x10000000, v122
	v_or3_b32 v121, v121, v122, v120
	v_lshrrev_b32_e32 v120, 8, v120
	v_and_b32_e32 v116, 31, v116
	v_and_b32_e32 v120, 31, v120
	v_cvt_f16_u16_e32 v116, v116
	v_cvt_f16_u16_e32 v120, v120
	v_pack_b32_f16 v116, v116, v120
	v_and_b32_sdwa v120, v121, v114 dst_sel:DWORD dst_unused:UNUSED_PAD src0_sel:WORD_1 src1_sel:DWORD
	v_cvt_f16_u16_sdwa v121, v121 dst_sel:DWORD dst_unused:UNUSED_PAD src0_sel:BYTE_3
	v_cvt_f16_u16_e32 v120, v120
	v_mul_u32_u24_sdwa v122, v126, s21 dst_sel:DWORD dst_unused:UNUSED_PAD src0_sel:WORD_0 src1_sel:DWORD
	v_mul_u32_u24_sdwa v123, v126, s21 dst_sel:DWORD dst_unused:UNUSED_PAD src0_sel:WORD_1 src1_sel:DWORD
	v_pack_b32_f16 v120, v120, v121
	v_pk_fma_f16 v116, v116, v122, v123
	v_pk_fma_f16 v120, v120, v122, v123
	;; [unrolled: 1-line block ×4, first 2 shown]
	v_lshl_add_u64 v[42:43], v[42:43], 0, s[38:39]
	v_lshl_add_u64 v[44:45], v[44:45], 0, s[38:39]
	;; [unrolled: 1-line block ×24, first 2 shown]
	s_cmp_ge_i32 s16, s42
	v_lshl_add_u64 v[90:91], v[90:91], 0, s[38:39]
	s_cbranch_scc1 .LBB0_30
; %bb.28:                               ;   in Loop: Header=BB0_19 Depth=1
	v_mov_b32_e32 v118, v117
	s_branch .LBB0_19
.LBB0_29:
	v_mov_b32_e32 v116, 0
	v_mov_b32_e32 v117, 0xfeffffff
	;; [unrolled: 1-line block ×3, first 2 shown]
.LBB0_30:
	s_cmp_lg_u64 s[24:25], 0
	v_or_b32_e32 v0, s3, v92
	s_cselect_b64 s[4:5], -1, 0
	v_cmp_eq_u32_e32 vcc, 0, v0
	s_and_b64 s[6:7], vcc, s[4:5]
	s_and_saveexec_b64 s[4:5], s[6:7]
	s_cbranch_execz .LBB0_32
; %bb.31:
	s_lshl_b64 s[6:7], s[40:41], 2
	s_add_u32 s6, s24, s6
	s_addc_u32 s7, s25, s7
	s_load_dword s6, s[6:7], 0x0
	v_max_f32_e32 v0, v117, v117
	s_mov_b32 s7, 0x3fb8aa3b
	s_mov_b32 s8, 0x42b17218
	s_waitcnt lgkmcnt(0)
	v_max_f32_e64 v1, s6, s6
	v_max_f32_e32 v0, v0, v1
	v_sub_f32_e32 v1, s6, v0
	v_mul_f32_e32 v2, 0x3fb8aa3b, v1
	v_fma_f32 v3, v1, s7, -v2
	v_rndne_f32_e32 v4, v2
	v_fmac_f32_e32 v3, 0x32a5705f, v1
	v_sub_f32_e32 v2, v2, v4
	v_add_f32_e32 v2, v2, v3
	v_cvt_i32_f32_e32 v3, v4
	v_exp_f32_e32 v2, v2
	s_mov_b32 s6, 0xc2ce8ed0
	v_cmp_ngt_f32_e32 vcc, s6, v1
	v_ldexp_f32 v2, v2, v3
	v_sub_f32_e32 v3, v117, v0
	v_mul_f32_e32 v4, 0x3fb8aa3b, v3
	v_fma_f32 v6, v3, s7, -v4
	v_rndne_f32_e32 v7, v4
	v_fmac_f32_e32 v6, 0x32a5705f, v3
	v_sub_f32_e32 v4, v4, v7
	v_add_f32_e32 v4, v4, v6
	v_exp_f32_e32 v4, v4
	v_cvt_i32_f32_e32 v6, v7
	v_cndmask_b32_e32 v2, 0, v2, vcc
	v_mov_b32_e32 v7, 0x7f800000
	v_cmp_nlt_f32_e32 vcc, s8, v1
	v_mov_b32_e32 v117, v0
	s_nop 0
	v_cndmask_b32_e32 v1, v7, v2, vcc
	v_ldexp_f32 v2, v4, v6
	v_cmp_ngt_f32_e32 vcc, s6, v3
	s_nop 1
	v_cndmask_b32_e32 v2, 0, v2, vcc
	v_cmp_nlt_f32_e32 vcc, s8, v3
	s_nop 1
	v_cndmask_b32_e32 v2, v7, v2, vcc
	v_cvt_f16_f32_e32 v3, v2
	v_cmp_eq_u32_e32 vcc, 0, v93
	s_nop 1
	v_cndmask_b32_e32 v1, 0, v1, vcc
	v_fmac_f32_e32 v1, v99, v2
	v_mul_u32_u24_e32 v2, 0x10001, v3
	v_pk_mul_f16 v116, v116, v2
	v_pk_mul_f16 v5, v5, v2
	v_mov_b32_e32 v99, v1
.LBB0_32:
	s_or_b64 exec, exec, s[4:5]
	s_and_saveexec_b64 s[4:5], s[14:15]
; %bb.33:
	v_mov_b32_e32 v0, 0xfeffffff
	v_mov_b32_e32 v1, 0
	v_add_u32_e32 v2, 0x400, v97
	ds_write2_b32 v2, v0, v1 offset1:32
; %bb.34:
	s_or_b64 exec, exec, s[4:5]
	v_cmp_eq_u32_e32 vcc, 0, v93
	v_lshlrev_b32_e32 v7, 2, v92
	s_waitcnt lgkmcnt(0)
	s_barrier
	s_and_saveexec_b64 s[4:5], vcc
; %bb.35:
	ds_write_b32 v7, v117 offset:1024
; %bb.36:
	s_or_b64 exec, exec, s[4:5]
	v_mbcnt_hi_u32_b32 v0, -1, v98
	s_waitcnt lgkmcnt(0)
	s_barrier
	v_and_b32_e32 v1, 0x60, v0
	ds_read_b32 v2, v97 offset:1024
	v_add_u32_e32 v3, 32, v1
	v_xor_b32_e32 v1, 16, v0
	v_cmp_lt_i32_e64 s[4:5], v1, v3
	s_nop 1
	v_cndmask_b32_e64 v1, v0, v1, s[4:5]
	v_lshlrev_b32_e32 v8, 2, v1
	s_waitcnt lgkmcnt(0)
	ds_bpermute_b32 v4, v8, v2
	v_xor_b32_e32 v1, 8, v0
	v_cmp_lt_i32_e64 s[4:5], v1, v3
	v_max_f32_e32 v2, v2, v2
	s_waitcnt lgkmcnt(0)
	v_max_f32_e32 v4, v4, v4
	v_cndmask_b32_e64 v1, v0, v1, s[4:5]
	v_lshlrev_b32_e32 v1, 2, v1
	v_max_f32_e32 v4, v2, v4
	ds_bpermute_b32 v6, v1, v4
	v_xor_b32_e32 v2, 4, v0
	v_cmp_lt_i32_e64 s[4:5], v2, v3
	s_waitcnt lgkmcnt(0)
	v_max_f32_e32 v6, v6, v6
	v_cndmask_b32_e64 v2, v0, v2, s[4:5]
	v_lshlrev_b32_e32 v2, 2, v2
	v_max_f32_e32 v4, v4, v6
	ds_bpermute_b32 v9, v2, v4
	v_xor_b32_e32 v6, 2, v0
	v_cmp_lt_i32_e64 s[4:5], v6, v3
	;; [unrolled: 8-line block ×3, first 2 shown]
	s_nop 1
	v_cndmask_b32_e64 v0, v0, v4, s[4:5]
	v_lshlrev_b32_e32 v4, 2, v0
	s_waitcnt lgkmcnt(0)
	v_max_f32_e32 v0, v10, v10
	v_max_f32_e32 v0, v9, v0
	ds_bpermute_b32 v3, v4, v0
	s_mov_b32 s4, 0x3fb8aa3b
	s_waitcnt lgkmcnt(0)
	v_max_f32_e32 v3, v3, v3
	v_max_f32_e32 v0, v0, v3
	v_sub_f32_e32 v3, v117, v0
	v_mul_f32_e32 v9, 0x3fb8aa3b, v3
	v_fma_f32 v10, v3, s4, -v9
	v_rndne_f32_e32 v11, v9
	v_fmamk_f32 v10, v3, 0x32a5705f, v10
	v_sub_f32_e32 v9, v9, v11
	v_add_f32_e32 v9, v9, v10
	v_exp_f32_e32 v9, v9
	v_cvt_i32_f32_e32 v10, v11
	s_mov_b32 s4, 0xc2ce8ed0
	v_cmp_ngt_f32_e64 s[4:5], s4, v3
	v_lshlrev_b32_e32 v11, 3, v93
	v_ldexp_f32 v9, v9, v10
	v_cndmask_b32_e64 v9, 0, v9, s[4:5]
	s_mov_b32 s4, 0x42b17218
	v_mov_b32_e32 v10, 0x7f800000
	v_cmp_nlt_f32_e64 s[4:5], s4, v3
	v_and_b32_e32 v12, 0x380, v11
	v_lshl_add_u32 v12, v92, 8, v12
	v_cndmask_b32_e64 v3, v10, v9, s[4:5]
	v_mul_f32_e32 v9, v99, v3
	ds_bpermute_b32 v9, v8, v9
	s_movk_i32 s4, 0x78
	v_and_or_b32 v12, v11, s4, v12
	s_waitcnt lgkmcnt(0)
	v_fmac_f32_e32 v9, v99, v3
	ds_bpermute_b32 v10, v1, v9
	v_cvt_f16_f32_e32 v3, v3
	s_waitcnt lgkmcnt(0)
	v_add_f32_e32 v9, v9, v10
	ds_bpermute_b32 v10, v2, v9
	v_mul_u32_u24_e32 v3, 0x10001, v3
	v_pk_mul_f16 v11, v5, v3
	s_waitcnt lgkmcnt(0)
	v_add_f32_e32 v9, v9, v10
	ds_bpermute_b32 v10, v6, v9
	s_waitcnt lgkmcnt(0)
	v_add_f32_e32 v9, v9, v10
	ds_bpermute_b32 v13, v4, v9
	v_pk_mul_f16 v10, v116, v3
	ds_write_b64 v12, v[10:11]
	s_waitcnt lgkmcnt(1)
	v_add_f32_e32 v3, v9, v13
	s_and_saveexec_b64 s[4:5], vcc
; %bb.37:
	ds_write_b32 v7, v3 offset:1152
; %bb.38:
	s_or_b64 exec, exec, s[4:5]
	s_waitcnt lgkmcnt(0)
	s_barrier
	s_load_dword s4, s[0:1], 0xd4
	s_mul_i32 s5, s33, s34
	s_add_i32 s0, s5, s2
	s_mul_i32 s0, s0, s35
	s_add_i32 s0, s0, s40
	v_cmp_gt_u32_e32 vcc, 64, v94
	s_waitcnt lgkmcnt(0)
	s_mul_i32 s2, s4, s0
	s_and_saveexec_b64 s[0:1], vcc
	s_cbranch_execz .LBB0_40
; %bb.39:
	ds_read_b32 v9, v97 offset:1152
	s_add_i32 s5, s2, s3
	s_cmp_eq_u32 s4, 1
	s_waitcnt lgkmcnt(0)
	ds_bpermute_b32 v11, v8, v9
	ds_read_u16 v3, v96
	ds_read_u16 v5, v96 offset:128
	ds_read_u16 v7, v96 offset:256
	;; [unrolled: 1-line block ×7, first 2 shown]
	s_waitcnt lgkmcnt(7)
	v_cvt_f32_f16_e32 v3, v3
	s_waitcnt lgkmcnt(6)
	v_cvt_f32_f16_e32 v5, v5
	;; [unrolled: 2-line block ×4, first 2 shown]
	v_add_f32_e32 v3, 0, v3
	v_add_f32_e32 v3, v3, v5
	;; [unrolled: 1-line block ×3, first 2 shown]
	v_pk_add_f32 v[8:9], v[8:9], v[10:11]
	ds_bpermute_b32 v11, v1, v9
	s_waitcnt lgkmcnt(4)
	v_cvt_f32_f16_e32 v10, v12
	s_waitcnt lgkmcnt(0)
	v_pk_add_f32 v[8:9], v[8:9], v[10:11]
	ds_bpermute_b32 v3, v2, v9
	v_cvt_f32_f16_e32 v2, v13
	s_waitcnt lgkmcnt(0)
	v_pk_add_f32 v[2:3], v[8:9], v[2:3]
	ds_bpermute_b32 v7, v6, v3
	v_cvt_f32_f16_e32 v6, v14
	v_mov_b32_e32 v8, s28
	v_mov_b32_e32 v9, s29
	s_waitcnt lgkmcnt(0)
	v_pk_add_f32 v[2:3], v[2:3], v[6:7]
	ds_bpermute_b32 v5, v4, v3
	v_cvt_f32_f16_e32 v4, v15
	v_mov_b32_e32 v7, 0
	v_lshl_or_b32 v6, s5, 6, v94
	s_waitcnt lgkmcnt(0)
	v_pk_add_f32 v[2:3], v[2:3], v[4:5]
	s_nop 0
	v_div_scale_f32 v1, s[6:7], v3, v3, v2
	v_rcp_f32_e32 v10, v1
	v_lshl_add_u64 v[4:5], v[6:7], 2, v[8:9]
	v_div_scale_f32 v6, vcc, v2, v3, v2
	v_fma_f32 v7, -v1, v10, 1.0
	v_fmac_f32_e32 v10, v7, v10
	v_mul_f32_e32 v7, v6, v10
	v_fma_f32 v8, -v1, v7, v6
	v_fmac_f32_e32 v7, v8, v10
	v_fma_f32 v1, -v1, v7, v6
	v_div_fmas_f32 v1, v1, v10, v7
	v_div_fixup_f32 v1, v1, v3, v2
	s_cselect_b64 vcc, -1, 0
	v_cndmask_b32_e32 v1, v2, v1, vcc
	global_store_dword v[4:5], v1, off
.LBB0_40:
	s_or_b64 exec, exec, s[0:1]
	s_cmp_lg_u32 s4, 1
	s_cselect_b64 s[4:5], -1, 0
	v_cmp_eq_u32_e32 vcc, 0, v94
	s_mov_b32 s1, 0
	s_and_b64 s[4:5], vcc, s[4:5]
	s_and_saveexec_b64 s[6:7], s[4:5]
	s_cbranch_execz .LBB0_42
; %bb.41:
	s_add_i32 s0, s2, s3
	s_lshl_b64 s[0:1], s[0:1], 3
	s_add_u32 s0, s30, s0
	s_addc_u32 s1, s31, s1
	v_mov_b32_e32 v2, 0
	v_mov_b32_e32 v1, v3
	global_store_dwordx2 v2, v[0:1], s[0:1]
.LBB0_42:
	s_endpgm
	.section	.rodata,"a",@progbits
	.p2align	6, 0x0
	.amdhsa_kernel _ZL18flash_attn_ext_vecILi64ELi1EL9ggml_type7ELS0_7ELb0EEvPKcS2_S2_S2_S2_PKiPfP15HIP_vector_typeIfLj2EEffffjfiS6_IjLj3EEiiiiiiiiiiiliiliiiiil
		.amdhsa_group_segment_fixed_size 1280
		.amdhsa_private_segment_fixed_size 0
		.amdhsa_kernarg_size 464
		.amdhsa_user_sgpr_count 2
		.amdhsa_user_sgpr_dispatch_ptr 0
		.amdhsa_user_sgpr_queue_ptr 0
		.amdhsa_user_sgpr_kernarg_segment_ptr 1
		.amdhsa_user_sgpr_dispatch_id 0
		.amdhsa_user_sgpr_kernarg_preload_length 0
		.amdhsa_user_sgpr_kernarg_preload_offset 0
		.amdhsa_user_sgpr_private_segment_size 0
		.amdhsa_uses_dynamic_stack 0
		.amdhsa_enable_private_segment 0
		.amdhsa_system_sgpr_workgroup_id_x 1
		.amdhsa_system_sgpr_workgroup_id_y 1
		.amdhsa_system_sgpr_workgroup_id_z 1
		.amdhsa_system_sgpr_workgroup_info 0
		.amdhsa_system_vgpr_workitem_id 1
		.amdhsa_next_free_vgpr 149
		.amdhsa_next_free_sgpr 64
		.amdhsa_accum_offset 152
		.amdhsa_reserve_vcc 1
		.amdhsa_float_round_mode_32 0
		.amdhsa_float_round_mode_16_64 0
		.amdhsa_float_denorm_mode_32 3
		.amdhsa_float_denorm_mode_16_64 3
		.amdhsa_dx10_clamp 1
		.amdhsa_ieee_mode 1
		.amdhsa_fp16_overflow 0
		.amdhsa_tg_split 0
		.amdhsa_exception_fp_ieee_invalid_op 0
		.amdhsa_exception_fp_denorm_src 0
		.amdhsa_exception_fp_ieee_div_zero 0
		.amdhsa_exception_fp_ieee_overflow 0
		.amdhsa_exception_fp_ieee_underflow 0
		.amdhsa_exception_fp_ieee_inexact 0
		.amdhsa_exception_int_div_zero 0
	.end_amdhsa_kernel
	.section	.text._ZL18flash_attn_ext_vecILi64ELi1EL9ggml_type7ELS0_7ELb0EEvPKcS2_S2_S2_S2_PKiPfP15HIP_vector_typeIfLj2EEffffjfiS6_IjLj3EEiiiiiiiiiiiliiliiiiil,"axG",@progbits,_ZL18flash_attn_ext_vecILi64ELi1EL9ggml_type7ELS0_7ELb0EEvPKcS2_S2_S2_S2_PKiPfP15HIP_vector_typeIfLj2EEffffjfiS6_IjLj3EEiiiiiiiiiiiliiliiiiil,comdat
.Lfunc_end0:
	.size	_ZL18flash_attn_ext_vecILi64ELi1EL9ggml_type7ELS0_7ELb0EEvPKcS2_S2_S2_S2_PKiPfP15HIP_vector_typeIfLj2EEffffjfiS6_IjLj3EEiiiiiiiiiiiliiliiiiil, .Lfunc_end0-_ZL18flash_attn_ext_vecILi64ELi1EL9ggml_type7ELS0_7ELb0EEvPKcS2_S2_S2_S2_PKiPfP15HIP_vector_typeIfLj2EEffffjfiS6_IjLj3EEiiiiiiiiiiiliiliiiiil
                                        ; -- End function
	.set _ZL18flash_attn_ext_vecILi64ELi1EL9ggml_type7ELS0_7ELb0EEvPKcS2_S2_S2_S2_PKiPfP15HIP_vector_typeIfLj2EEffffjfiS6_IjLj3EEiiiiiiiiiiiliiliiiiil.num_vgpr, 149
	.set _ZL18flash_attn_ext_vecILi64ELi1EL9ggml_type7ELS0_7ELb0EEvPKcS2_S2_S2_S2_PKiPfP15HIP_vector_typeIfLj2EEffffjfiS6_IjLj3EEiiiiiiiiiiiliiliiiiil.num_agpr, 0
	.set _ZL18flash_attn_ext_vecILi64ELi1EL9ggml_type7ELS0_7ELb0EEvPKcS2_S2_S2_S2_PKiPfP15HIP_vector_typeIfLj2EEffffjfiS6_IjLj3EEiiiiiiiiiiiliiliiiiil.numbered_sgpr, 64
	.set _ZL18flash_attn_ext_vecILi64ELi1EL9ggml_type7ELS0_7ELb0EEvPKcS2_S2_S2_S2_PKiPfP15HIP_vector_typeIfLj2EEffffjfiS6_IjLj3EEiiiiiiiiiiiliiliiiiil.num_named_barrier, 0
	.set _ZL18flash_attn_ext_vecILi64ELi1EL9ggml_type7ELS0_7ELb0EEvPKcS2_S2_S2_S2_PKiPfP15HIP_vector_typeIfLj2EEffffjfiS6_IjLj3EEiiiiiiiiiiiliiliiiiil.private_seg_size, 0
	.set _ZL18flash_attn_ext_vecILi64ELi1EL9ggml_type7ELS0_7ELb0EEvPKcS2_S2_S2_S2_PKiPfP15HIP_vector_typeIfLj2EEffffjfiS6_IjLj3EEiiiiiiiiiiiliiliiiiil.uses_vcc, 1
	.set _ZL18flash_attn_ext_vecILi64ELi1EL9ggml_type7ELS0_7ELb0EEvPKcS2_S2_S2_S2_PKiPfP15HIP_vector_typeIfLj2EEffffjfiS6_IjLj3EEiiiiiiiiiiiliiliiiiil.uses_flat_scratch, 0
	.set _ZL18flash_attn_ext_vecILi64ELi1EL9ggml_type7ELS0_7ELb0EEvPKcS2_S2_S2_S2_PKiPfP15HIP_vector_typeIfLj2EEffffjfiS6_IjLj3EEiiiiiiiiiiiliiliiiiil.has_dyn_sized_stack, 0
	.set _ZL18flash_attn_ext_vecILi64ELi1EL9ggml_type7ELS0_7ELb0EEvPKcS2_S2_S2_S2_PKiPfP15HIP_vector_typeIfLj2EEffffjfiS6_IjLj3EEiiiiiiiiiiiliiliiiiil.has_recursion, 0
	.set _ZL18flash_attn_ext_vecILi64ELi1EL9ggml_type7ELS0_7ELb0EEvPKcS2_S2_S2_S2_PKiPfP15HIP_vector_typeIfLj2EEffffjfiS6_IjLj3EEiiiiiiiiiiiliiliiiiil.has_indirect_call, 0
	.section	.AMDGPU.csdata,"",@progbits
; Kernel info:
; codeLenInByte = 12824
; TotalNumSgprs: 70
; NumVgprs: 149
; NumAgprs: 0
; TotalNumVgprs: 149
; ScratchSize: 0
; MemoryBound: 0
; FloatMode: 240
; IeeeMode: 1
; LDSByteSize: 1280 bytes/workgroup (compile time only)
; SGPRBlocks: 8
; VGPRBlocks: 18
; NumSGPRsForWavesPerEU: 70
; NumVGPRsForWavesPerEU: 149
; AccumOffset: 152
; Occupancy: 3
; WaveLimiterHint : 0
; COMPUTE_PGM_RSRC2:SCRATCH_EN: 0
; COMPUTE_PGM_RSRC2:USER_SGPR: 2
; COMPUTE_PGM_RSRC2:TRAP_HANDLER: 0
; COMPUTE_PGM_RSRC2:TGID_X_EN: 1
; COMPUTE_PGM_RSRC2:TGID_Y_EN: 1
; COMPUTE_PGM_RSRC2:TGID_Z_EN: 1
; COMPUTE_PGM_RSRC2:TIDIG_COMP_CNT: 1
; COMPUTE_PGM_RSRC3_GFX90A:ACCUM_OFFSET: 37
; COMPUTE_PGM_RSRC3_GFX90A:TG_SPLIT: 0
	.section	.text._ZL25flash_attn_mask_to_KV_maxILi1EEvPK7__half2Piiii,"axG",@progbits,_ZL25flash_attn_mask_to_KV_maxILi1EEvPK7__half2Piiii,comdat
	.globl	_ZL25flash_attn_mask_to_KV_maxILi1EEvPK7__half2Piiii ; -- Begin function _ZL25flash_attn_mask_to_KV_maxILi1EEvPK7__half2Piiii
	.p2align	8
	.type	_ZL25flash_attn_mask_to_KV_maxILi1EEvPK7__half2Piiii,@function
_ZL25flash_attn_mask_to_KV_maxILi1EEvPK7__half2Piiii: ; @_ZL25flash_attn_mask_to_KV_maxILi1EEvPK7__half2Piiii
; %bb.0:
	s_load_dwordx4 s[4:7], s[0:1], 0x0
	v_cmp_gt_u32_e32 vcc, 32, v0
	s_and_saveexec_b64 s[8:9], vcc
; %bb.1:
	v_lshlrev_b32_e32 v1, 2, v0
	v_mov_b32_e32 v2, 1
	ds_write_b32 v1, v2
; %bb.2:
	s_or_b64 exec, exec, s[8:9]
	s_load_dwordx4 s[16:19], s[0:1], 0x10
	s_load_dword s14, s[0:1], 0x20
	v_and_b32_e32 v2, 31, v0
	v_lshlrev_b32_e32 v4, 2, v2
	v_lshrrev_b32_e32 v1, 3, v0
	s_waitcnt lgkmcnt(0)
	s_mul_i32 s0, s18, s3
	s_mul_i32 s1, s17, s2
	s_add_i32 s0, s0, s1
	s_ashr_i32 s1, s0, 31
	s_lshl_b64 s[0:1], s[0:1], 2
	s_add_u32 s8, s4, s0
	s_addc_u32 s9, s5, s1
	v_cmp_eq_u32_e64 s[0:1], 0, v2
	v_mbcnt_lo_u32_b32 v2, -1, 0
	v_mbcnt_hi_u32_b32 v5, -1, v2
	v_and_b32_e32 v2, 0x60, v5
	s_lshl_b32 s15, s16, 8
	s_mov_b64 s[10:11], 0
	v_mov_b32_e32 v3, 0
	s_movk_i32 s16, 0x204
	v_add_u32_e32 v6, 32, v2
	v_xor_b32_e32 v7, 16, v5
	v_xor_b32_e32 v8, 8, v5
	;; [unrolled: 1-line block ×5, first 2 shown]
	s_barrier
                                        ; implicit-def: $sgpr4_sgpr5
	s_branch .LBB1_5
.LBB1_3:                                ;   in Loop: Header=BB1_5 Depth=1
	s_or_b64 exec, exec, s[12:13]
	s_waitcnt lgkmcnt(0)
	s_barrier
	ds_read_b32 v16, v4
	s_waitcnt lgkmcnt(0)
	s_barrier
	ds_bpermute_b32 v2, v2, v16
	v_cmp_ne_u32_e32 vcc, 0, v16
	s_waitcnt lgkmcnt(0)
	v_cmp_ne_u32_e64 s[4:5], 0, v2
	s_and_b64 s[4:5], vcc, s[4:5]
	s_nop 0
	v_cndmask_b32_e64 v2, 0, 1, s[4:5]
	ds_bpermute_b32 v2, v12, v2
	s_waitcnt lgkmcnt(0)
	v_cmp_ne_u32_e32 vcc, 0, v2
	s_and_b64 s[4:5], vcc, s[4:5]
	v_cndmask_b32_e64 v2, 0, 1, s[4:5]
	ds_bpermute_b32 v2, v13, v2
	s_waitcnt lgkmcnt(0)
	v_cmp_ne_u32_e32 vcc, 0, v2
	s_and_b64 s[4:5], vcc, s[4:5]
	;; [unrolled: 5-line block ×3, first 2 shown]
	v_cndmask_b32_e64 v2, 0, 1, s[4:5]
	ds_bpermute_b32 v2, v15, v2
	s_xor_b64 s[4:5], s[4:5], -1
	s_waitcnt lgkmcnt(0)
	v_cmp_eq_u32_e32 vcc, 0, v2
	s_or_b64 s[4:5], vcc, s[4:5]
.LBB1_4:                                ;   in Loop: Header=BB1_5 Depth=1
	s_and_b64 s[12:13], exec, s[4:5]
	s_or_b64 s[10:11], s[12:13], s[10:11]
	v_mov_b32_e32 v2, s15
	s_mov_b32 s15, s17
	s_andn2_b64 exec, exec, s[10:11]
	s_cbranch_execz .LBB1_10
.LBB1_5:                                ; =>This Inner Loop Header: Depth=1
	s_add_i32 s17, s15, 0xffffff00
	s_or_b64 s[4:5], s[4:5], exec
	s_cmp_lt_i32 s17, 0
	s_cbranch_scc1 .LBB1_4
; %bb.6:                                ;   in Loop: Header=BB1_5 Depth=1
	s_lshr_b32 s4, s17, 1
	v_add_u32_e32 v2, s4, v0
	v_lshl_add_u64 v[12:13], v[2:3], 2, s[8:9]
	global_load_dword v2, v[12:13], off
	v_mov_b32_e32 v12, 0
	s_waitcnt vmcnt(0)
	v_cmp_class_f16_e64 s[12:13], v2, s16
	s_and_saveexec_b64 s[4:5], s[12:13]
; %bb.7:                                ;   in Loop: Header=BB1_5 Depth=1
	v_cmp_class_f16_sdwa s[12:13], v2, s16 src0_sel:WORD_1 src1_sel:DWORD
	s_nop 1
	v_cndmask_b32_e64 v12, 0, 1, s[12:13]
; %bb.8:                                ;   in Loop: Header=BB1_5 Depth=1
	s_or_b64 exec, exec, s[4:5]
	v_cmp_lt_i32_e32 vcc, v7, v6
	s_nop 1
	v_cndmask_b32_e32 v2, v5, v7, vcc
	v_lshlrev_b32_e32 v2, 2, v2
	ds_bpermute_b32 v13, v2, v12
	v_cmp_ne_u32_e32 vcc, 0, v12
	s_waitcnt lgkmcnt(0)
	v_cmp_ne_u32_e64 s[4:5], 0, v13
	s_and_b64 s[4:5], vcc, s[4:5]
	v_cmp_lt_i32_e32 vcc, v8, v6
	v_cndmask_b32_e64 v13, 0, 1, s[4:5]
	s_nop 0
	v_cndmask_b32_e32 v12, v5, v8, vcc
	v_lshlrev_b32_e32 v12, 2, v12
	ds_bpermute_b32 v13, v12, v13
	s_waitcnt lgkmcnt(0)
	v_cmp_ne_u32_e32 vcc, 0, v13
	s_and_b64 s[4:5], vcc, s[4:5]
	v_cmp_lt_i32_e32 vcc, v9, v6
	v_cndmask_b32_e64 v14, 0, 1, s[4:5]
	s_nop 0
	v_cndmask_b32_e32 v13, v5, v9, vcc
	v_lshlrev_b32_e32 v13, 2, v13
	ds_bpermute_b32 v14, v13, v14
	s_waitcnt lgkmcnt(0)
	v_cmp_ne_u32_e32 vcc, 0, v14
	;; [unrolled: 9-line block ×3, first 2 shown]
	s_and_b64 s[4:5], vcc, s[4:5]
	v_cmp_lt_i32_e32 vcc, v11, v6
	v_cndmask_b32_e64 v16, 0, 1, s[4:5]
	s_nop 0
	v_cndmask_b32_e32 v15, v5, v11, vcc
	v_lshlrev_b32_e32 v15, 2, v15
	ds_bpermute_b32 v16, v15, v16
	s_and_saveexec_b64 s[12:13], s[0:1]
	s_cbranch_execz .LBB1_3
; %bb.9:                                ;   in Loop: Header=BB1_5 Depth=1
	s_waitcnt lgkmcnt(0)
	v_cmp_ne_u32_e32 vcc, 0, v16
	s_and_b64 s[4:5], vcc, s[4:5]
	v_cndmask_b32_e64 v16, 0, 1, s[4:5]
	ds_write_b32 v1, v16
	s_branch .LBB1_3
.LBB1_10:
	s_or_b64 exec, exec, s[10:11]
	v_cmp_eq_u32_e32 vcc, 0, v0
	s_and_saveexec_b64 s[0:1], vcc
	s_cbranch_execz .LBB1_12
; %bb.11:
	s_mul_i32 s0, s14, s3
	s_add_i32 s0, s0, s2
	s_ashr_i32 s1, s0, 31
	s_lshl_b64 s[0:1], s[0:1], 2
	s_add_u32 s0, s6, s0
	s_addc_u32 s1, s7, s1
	v_mov_b32_e32 v0, 0
	global_store_dword v0, v2, s[0:1]
.LBB1_12:
	s_endpgm
	.section	.rodata,"a",@progbits
	.p2align	6, 0x0
	.amdhsa_kernel _ZL25flash_attn_mask_to_KV_maxILi1EEvPK7__half2Piiii
		.amdhsa_group_segment_fixed_size 128
		.amdhsa_private_segment_fixed_size 0
		.amdhsa_kernarg_size 288
		.amdhsa_user_sgpr_count 2
		.amdhsa_user_sgpr_dispatch_ptr 0
		.amdhsa_user_sgpr_queue_ptr 0
		.amdhsa_user_sgpr_kernarg_segment_ptr 1
		.amdhsa_user_sgpr_dispatch_id 0
		.amdhsa_user_sgpr_kernarg_preload_length 0
		.amdhsa_user_sgpr_kernarg_preload_offset 0
		.amdhsa_user_sgpr_private_segment_size 0
		.amdhsa_uses_dynamic_stack 0
		.amdhsa_enable_private_segment 0
		.amdhsa_system_sgpr_workgroup_id_x 1
		.amdhsa_system_sgpr_workgroup_id_y 1
		.amdhsa_system_sgpr_workgroup_id_z 0
		.amdhsa_system_sgpr_workgroup_info 0
		.amdhsa_system_vgpr_workitem_id 0
		.amdhsa_next_free_vgpr 17
		.amdhsa_next_free_sgpr 20
		.amdhsa_accum_offset 20
		.amdhsa_reserve_vcc 1
		.amdhsa_float_round_mode_32 0
		.amdhsa_float_round_mode_16_64 0
		.amdhsa_float_denorm_mode_32 3
		.amdhsa_float_denorm_mode_16_64 3
		.amdhsa_dx10_clamp 1
		.amdhsa_ieee_mode 1
		.amdhsa_fp16_overflow 0
		.amdhsa_tg_split 0
		.amdhsa_exception_fp_ieee_invalid_op 0
		.amdhsa_exception_fp_denorm_src 0
		.amdhsa_exception_fp_ieee_div_zero 0
		.amdhsa_exception_fp_ieee_overflow 0
		.amdhsa_exception_fp_ieee_underflow 0
		.amdhsa_exception_fp_ieee_inexact 0
		.amdhsa_exception_int_div_zero 0
	.end_amdhsa_kernel
	.section	.text._ZL25flash_attn_mask_to_KV_maxILi1EEvPK7__half2Piiii,"axG",@progbits,_ZL25flash_attn_mask_to_KV_maxILi1EEvPK7__half2Piiii,comdat
.Lfunc_end1:
	.size	_ZL25flash_attn_mask_to_KV_maxILi1EEvPK7__half2Piiii, .Lfunc_end1-_ZL25flash_attn_mask_to_KV_maxILi1EEvPK7__half2Piiii
                                        ; -- End function
	.set _ZL25flash_attn_mask_to_KV_maxILi1EEvPK7__half2Piiii.num_vgpr, 17
	.set _ZL25flash_attn_mask_to_KV_maxILi1EEvPK7__half2Piiii.num_agpr, 0
	.set _ZL25flash_attn_mask_to_KV_maxILi1EEvPK7__half2Piiii.numbered_sgpr, 20
	.set _ZL25flash_attn_mask_to_KV_maxILi1EEvPK7__half2Piiii.num_named_barrier, 0
	.set _ZL25flash_attn_mask_to_KV_maxILi1EEvPK7__half2Piiii.private_seg_size, 0
	.set _ZL25flash_attn_mask_to_KV_maxILi1EEvPK7__half2Piiii.uses_vcc, 1
	.set _ZL25flash_attn_mask_to_KV_maxILi1EEvPK7__half2Piiii.uses_flat_scratch, 0
	.set _ZL25flash_attn_mask_to_KV_maxILi1EEvPK7__half2Piiii.has_dyn_sized_stack, 0
	.set _ZL25flash_attn_mask_to_KV_maxILi1EEvPK7__half2Piiii.has_recursion, 0
	.set _ZL25flash_attn_mask_to_KV_maxILi1EEvPK7__half2Piiii.has_indirect_call, 0
	.section	.AMDGPU.csdata,"",@progbits
; Kernel info:
; codeLenInByte = 768
; TotalNumSgprs: 26
; NumVgprs: 17
; NumAgprs: 0
; TotalNumVgprs: 17
; ScratchSize: 0
; MemoryBound: 0
; FloatMode: 240
; IeeeMode: 1
; LDSByteSize: 128 bytes/workgroup (compile time only)
; SGPRBlocks: 3
; VGPRBlocks: 2
; NumSGPRsForWavesPerEU: 26
; NumVGPRsForWavesPerEU: 17
; AccumOffset: 20
; Occupancy: 8
; WaveLimiterHint : 0
; COMPUTE_PGM_RSRC2:SCRATCH_EN: 0
; COMPUTE_PGM_RSRC2:USER_SGPR: 2
; COMPUTE_PGM_RSRC2:TRAP_HANDLER: 0
; COMPUTE_PGM_RSRC2:TGID_X_EN: 1
; COMPUTE_PGM_RSRC2:TGID_Y_EN: 1
; COMPUTE_PGM_RSRC2:TGID_Z_EN: 0
; COMPUTE_PGM_RSRC2:TIDIG_COMP_CNT: 0
; COMPUTE_PGM_RSRC3_GFX90A:ACCUM_OFFSET: 4
; COMPUTE_PGM_RSRC3_GFX90A:TG_SPLIT: 0
	.section	.text._ZL33flash_attn_stream_k_fixup_uniformILi64ELi1ELi1EEvPfPK15HIP_vector_typeIfLj2EEiiiiiiS1_IjLj3EES5_S5_,"axG",@progbits,_ZL33flash_attn_stream_k_fixup_uniformILi64ELi1ELi1EEvPfPK15HIP_vector_typeIfLj2EEiiiiiiS1_IjLj3EES5_S5_,comdat
	.globl	_ZL33flash_attn_stream_k_fixup_uniformILi64ELi1ELi1EEvPfPK15HIP_vector_typeIfLj2EEiiiiiiS1_IjLj3EES5_S5_ ; -- Begin function _ZL33flash_attn_stream_k_fixup_uniformILi64ELi1ELi1EEvPfPK15HIP_vector_typeIfLj2EEiiiiiiS1_IjLj3EES5_S5_
	.p2align	8
	.type	_ZL33flash_attn_stream_k_fixup_uniformILi64ELi1ELi1EEvPfPK15HIP_vector_typeIfLj2EEiiiiiiS1_IjLj3EES5_S5_,@function
_ZL33flash_attn_stream_k_fixup_uniformILi64ELi1ELi1EEvPfPK15HIP_vector_typeIfLj2EEiiiiiiS1_IjLj3EES5_S5_: ; @_ZL33flash_attn_stream_k_fixup_uniformILi64ELi1ELi1EEvPfPK15HIP_vector_typeIfLj2EEiiiiiiS1_IjLj3EES5_S5_
; %bb.0:
	s_load_dwordx8 s[8:15], s[0:1], 0x1c
	s_load_dwordx2 s[6:7], s[0:1], 0x10
	s_load_dwordx4 s[16:19], s[0:1], 0x3c
	s_waitcnt lgkmcnt(0)
	s_mul_hi_u32 s5, s11, s2
	s_add_i32 s5, s2, s5
	s_lshr_b32 s5, s5, s12
	s_mul_i32 s11, s5, s13
	s_sub_i32 s12, s2, s11
	s_mul_hi_u32 s11, s12, s14
	s_add_i32 s11, s12, s11
	s_lshr_b32 s11, s11, s15
	s_mul_i32 s13, s11, s16
	s_sub_i32 s12, s12, s13
	;; [unrolled: 5-line block ×3, first 2 shown]
	s_add_i32 s17, s17, s3
	s_cmp_lt_i32 s17, s6
	s_cselect_b64 s[12:13], -1, 0
	s_add_i32 s16, s16, s4
	s_cmp_lt_i32 s16, s9
	s_cselect_b64 s[14:15], -1, 0
	s_and_b64 s[12:13], s[12:13], s[14:15]
	s_andn2_b64 vcc, exec, s[12:13]
	s_cbranch_vccnz .LBB2_6
; %bb.1:
	s_load_dwordx4 s[12:15], s[0:1], 0x0
	s_mul_i32 s5, s5, s6
	s_mul_i32 s11, s11, s9
	s_add_i32 s0, s17, s5
	s_mul_i32 s0, s0, s7
	s_add_i32 s1, s16, s11
	s_add_i32 s1, s1, s0
	v_lshl_or_b32 v4, s1, 6, v0
	s_waitcnt lgkmcnt(0)
	v_mov_b32_e32 v2, s12
	v_mov_b32_e32 v3, s13
	v_ashrrev_i32_e32 v5, 31, v4
	v_lshl_add_u64 v[2:3], v[4:5], 2, v[2:3]
	global_load_dword v5, v[2:3], off
	s_add_i32 s6, s3, s4
	s_mul_i32 s4, s10, s2
	s_add_i32 s5, s4, s10
	s_add_i32 s7, s6, s5
	s_add_i32 s0, s7, -1
	s_ashr_i32 s1, s0, 31
	s_lshl_b64 s[0:1], s[0:1], 3
	s_add_u32 s0, s14, s0
	s_addc_u32 s1, s15, s1
	s_load_dword s9, s[0:1], 0x4
	s_add_i32 s2, s5, -2
	s_cmp_lt_i32 s2, s4
	s_cbranch_scc1 .LBB2_4
; %bb.2:
	s_load_dword s0, s[0:1], 0x0
	s_lshl_b32 s2, s8, 2
	s_ashr_i32 s3, s2, 31
	s_lshl_b64 s[2:3], s[2:3], 2
	s_add_u32 s2, s14, s2
	v_lshl_or_b32 v0, s7, 6, v0
	s_addc_u32 s3, s15, s3
	s_add_i32 s5, s5, -1
	s_add_i32 s6, s6, s8
	v_add_u32_e32 v0, 0xffffff80, v0
	s_waitcnt lgkmcnt(0)
	v_mov_b32_e32 v6, s0
	v_mov_b32_e32 v4, s9
	s_mov_b32 s7, 0x3fb8aa3b
	s_mov_b32 s8, 0xc2ce8ed0
	;; [unrolled: 1-line block ×3, first 2 shown]
	v_mov_b32_e32 v7, 0x7f800000
	s_mov_b32 s10, 0xc1a00000
.LBB2_3:                                ; =>This Inner Loop Header: Depth=1
	v_ashrrev_i32_e32 v1, 31, v0
	v_lshl_add_u64 v[8:9], v[0:1], 2, s[2:3]
	global_load_dword v9, v[8:9], off
	s_add_i32 s5, s5, -1
	s_add_i32 s0, s5, s6
	s_ashr_i32 s1, s0, 31
	s_lshl_b64 s[0:1], s[0:1], 3
	s_add_u32 s0, s14, s0
	s_addc_u32 s1, s15, s1
	s_load_dwordx2 s[0:1], s[0:1], 0x0
	v_max_f32_e32 v1, v6, v6
	v_subrev_u32_e32 v0, 64, v0
	s_cmp_le_i32 s5, s4
	s_waitcnt lgkmcnt(0)
	v_max_f32_e64 v10, s0, s0
	v_max_f32_e32 v1, v1, v10
	v_sub_f32_e32 v11, s0, v1
	v_sub_f32_e32 v10, v6, v1
	v_mul_f32_e32 v12, 0x3fb8aa3b, v11
	v_mov_b32_e32 v6, v1
	v_mul_f32_e32 v1, 0x3fb8aa3b, v10
	v_fma_f32 v15, v11, s7, -v12
	v_rndne_f32_e32 v16, v12
	v_fma_f32 v13, v10, s7, -v1
	v_rndne_f32_e32 v14, v1
	v_fmac_f32_e32 v15, 0x32a5705f, v11
	v_sub_f32_e32 v12, v12, v16
	v_fmac_f32_e32 v13, 0x32a5705f, v10
	v_sub_f32_e32 v1, v1, v14
	v_add_f32_e32 v12, v12, v15
	v_cvt_i32_f32_e32 v16, v16
	v_add_f32_e32 v1, v1, v13
	v_exp_f32_e32 v12, v12
	v_cvt_i32_f32_e32 v14, v14
	v_exp_f32_e32 v1, v1
	v_cmp_ngt_f32_e32 vcc, s8, v11
	v_ldexp_f32 v12, v12, v16
	v_mov_b32_e32 v8, s1
	v_ldexp_f32 v1, v1, v14
	v_cmp_ngt_f32_e64 s[0:1], s8, v10
	v_cndmask_b32_e32 v12, 0, v12, vcc
	v_cmp_nlt_f32_e32 vcc, s9, v11
	v_cndmask_b32_e64 v1, 0, v1, s[0:1]
	v_cmp_nlt_f32_e64 s[0:1], s9, v10
	v_cndmask_b32_e32 v12, v7, v12, vcc
	v_cmp_le_f32_e32 vcc, s10, v11
	v_cndmask_b32_e64 v1, v7, v1, s[0:1]
	v_cmp_le_f32_e64 s[0:1], s10, v10
	v_cndmask_b32_e32 v12, 0, v12, vcc
	s_waitcnt vmcnt(0)
	v_pk_mul_f32 v[8:9], v[8:9], v[12:13] op_sel_hi:[1,0]
	v_cndmask_b32_e64 v10, 0, v1, s[0:1]
	v_pk_fma_f32 v[4:5], v[4:5], v[10:11], v[8:9] op_sel_hi:[1,0,1]
	s_cbranch_scc0 .LBB2_3
	s_branch .LBB2_5
.LBB2_4:
	s_waitcnt lgkmcnt(0)
	v_mov_b32_e32 v4, s9
.LBB2_5:
	s_waitcnt vmcnt(0)
	v_div_scale_f32 v0, s[0:1], v4, v4, v5
	v_rcp_f32_e32 v1, v0
	v_div_scale_f32 v6, vcc, v5, v4, v5
	v_fma_f32 v7, -v0, v1, 1.0
	v_fmac_f32_e32 v1, v7, v1
	v_mul_f32_e32 v7, v6, v1
	v_fma_f32 v8, -v0, v7, v6
	v_fmac_f32_e32 v7, v8, v1
	v_fma_f32 v0, -v0, v7, v6
	v_div_fmas_f32 v0, v0, v1, v7
	v_div_fixup_f32 v0, v0, v4, v5
	global_store_dword v[2:3], v0, off
.LBB2_6:
	s_endpgm
	.section	.rodata,"a",@progbits
	.p2align	6, 0x0
	.amdhsa_kernel _ZL33flash_attn_stream_k_fixup_uniformILi64ELi1ELi1EEvPfPK15HIP_vector_typeIfLj2EEiiiiiiS1_IjLj3EES5_S5_
		.amdhsa_group_segment_fixed_size 0
		.amdhsa_private_segment_fixed_size 0
		.amdhsa_kernarg_size 76
		.amdhsa_user_sgpr_count 2
		.amdhsa_user_sgpr_dispatch_ptr 0
		.amdhsa_user_sgpr_queue_ptr 0
		.amdhsa_user_sgpr_kernarg_segment_ptr 1
		.amdhsa_user_sgpr_dispatch_id 0
		.amdhsa_user_sgpr_kernarg_preload_length 0
		.amdhsa_user_sgpr_kernarg_preload_offset 0
		.amdhsa_user_sgpr_private_segment_size 0
		.amdhsa_uses_dynamic_stack 0
		.amdhsa_enable_private_segment 0
		.amdhsa_system_sgpr_workgroup_id_x 1
		.amdhsa_system_sgpr_workgroup_id_y 1
		.amdhsa_system_sgpr_workgroup_id_z 1
		.amdhsa_system_sgpr_workgroup_info 0
		.amdhsa_system_vgpr_workitem_id 0
		.amdhsa_next_free_vgpr 17
		.amdhsa_next_free_sgpr 20
		.amdhsa_accum_offset 20
		.amdhsa_reserve_vcc 1
		.amdhsa_float_round_mode_32 0
		.amdhsa_float_round_mode_16_64 0
		.amdhsa_float_denorm_mode_32 3
		.amdhsa_float_denorm_mode_16_64 3
		.amdhsa_dx10_clamp 1
		.amdhsa_ieee_mode 1
		.amdhsa_fp16_overflow 0
		.amdhsa_tg_split 0
		.amdhsa_exception_fp_ieee_invalid_op 0
		.amdhsa_exception_fp_denorm_src 0
		.amdhsa_exception_fp_ieee_div_zero 0
		.amdhsa_exception_fp_ieee_overflow 0
		.amdhsa_exception_fp_ieee_underflow 0
		.amdhsa_exception_fp_ieee_inexact 0
		.amdhsa_exception_int_div_zero 0
	.end_amdhsa_kernel
	.section	.text._ZL33flash_attn_stream_k_fixup_uniformILi64ELi1ELi1EEvPfPK15HIP_vector_typeIfLj2EEiiiiiiS1_IjLj3EES5_S5_,"axG",@progbits,_ZL33flash_attn_stream_k_fixup_uniformILi64ELi1ELi1EEvPfPK15HIP_vector_typeIfLj2EEiiiiiiS1_IjLj3EES5_S5_,comdat
.Lfunc_end2:
	.size	_ZL33flash_attn_stream_k_fixup_uniformILi64ELi1ELi1EEvPfPK15HIP_vector_typeIfLj2EEiiiiiiS1_IjLj3EES5_S5_, .Lfunc_end2-_ZL33flash_attn_stream_k_fixup_uniformILi64ELi1ELi1EEvPfPK15HIP_vector_typeIfLj2EEiiiiiiS1_IjLj3EES5_S5_
                                        ; -- End function
	.set _ZL33flash_attn_stream_k_fixup_uniformILi64ELi1ELi1EEvPfPK15HIP_vector_typeIfLj2EEiiiiiiS1_IjLj3EES5_S5_.num_vgpr, 17
	.set _ZL33flash_attn_stream_k_fixup_uniformILi64ELi1ELi1EEvPfPK15HIP_vector_typeIfLj2EEiiiiiiS1_IjLj3EES5_S5_.num_agpr, 0
	.set _ZL33flash_attn_stream_k_fixup_uniformILi64ELi1ELi1EEvPfPK15HIP_vector_typeIfLj2EEiiiiiiS1_IjLj3EES5_S5_.numbered_sgpr, 20
	.set _ZL33flash_attn_stream_k_fixup_uniformILi64ELi1ELi1EEvPfPK15HIP_vector_typeIfLj2EEiiiiiiS1_IjLj3EES5_S5_.num_named_barrier, 0
	.set _ZL33flash_attn_stream_k_fixup_uniformILi64ELi1ELi1EEvPfPK15HIP_vector_typeIfLj2EEiiiiiiS1_IjLj3EES5_S5_.private_seg_size, 0
	.set _ZL33flash_attn_stream_k_fixup_uniformILi64ELi1ELi1EEvPfPK15HIP_vector_typeIfLj2EEiiiiiiS1_IjLj3EES5_S5_.uses_vcc, 1
	.set _ZL33flash_attn_stream_k_fixup_uniformILi64ELi1ELi1EEvPfPK15HIP_vector_typeIfLj2EEiiiiiiS1_IjLj3EES5_S5_.uses_flat_scratch, 0
	.set _ZL33flash_attn_stream_k_fixup_uniformILi64ELi1ELi1EEvPfPK15HIP_vector_typeIfLj2EEiiiiiiS1_IjLj3EES5_S5_.has_dyn_sized_stack, 0
	.set _ZL33flash_attn_stream_k_fixup_uniformILi64ELi1ELi1EEvPfPK15HIP_vector_typeIfLj2EEiiiiiiS1_IjLj3EES5_S5_.has_recursion, 0
	.set _ZL33flash_attn_stream_k_fixup_uniformILi64ELi1ELi1EEvPfPK15HIP_vector_typeIfLj2EEiiiiiiS1_IjLj3EES5_S5_.has_indirect_call, 0
	.section	.AMDGPU.csdata,"",@progbits
; Kernel info:
; codeLenInByte = 752
; TotalNumSgprs: 26
; NumVgprs: 17
; NumAgprs: 0
; TotalNumVgprs: 17
; ScratchSize: 0
; MemoryBound: 0
; FloatMode: 240
; IeeeMode: 1
; LDSByteSize: 0 bytes/workgroup (compile time only)
; SGPRBlocks: 3
; VGPRBlocks: 2
; NumSGPRsForWavesPerEU: 26
; NumVGPRsForWavesPerEU: 17
; AccumOffset: 20
; Occupancy: 8
; WaveLimiterHint : 0
; COMPUTE_PGM_RSRC2:SCRATCH_EN: 0
; COMPUTE_PGM_RSRC2:USER_SGPR: 2
; COMPUTE_PGM_RSRC2:TRAP_HANDLER: 0
; COMPUTE_PGM_RSRC2:TGID_X_EN: 1
; COMPUTE_PGM_RSRC2:TGID_Y_EN: 1
; COMPUTE_PGM_RSRC2:TGID_Z_EN: 1
; COMPUTE_PGM_RSRC2:TIDIG_COMP_CNT: 0
; COMPUTE_PGM_RSRC3_GFX90A:ACCUM_OFFSET: 4
; COMPUTE_PGM_RSRC3_GFX90A:TG_SPLIT: 0
	.section	.text._ZL33flash_attn_stream_k_fixup_generalILi64ELi1ELi1EEvPfPK15HIP_vector_typeIfLj2EEiiiiS1_IjLj3EES5_S5_S5_,"axG",@progbits,_ZL33flash_attn_stream_k_fixup_generalILi64ELi1ELi1EEvPfPK15HIP_vector_typeIfLj2EEiiiiS1_IjLj3EES5_S5_S5_,comdat
	.globl	_ZL33flash_attn_stream_k_fixup_generalILi64ELi1ELi1EEvPfPK15HIP_vector_typeIfLj2EEiiiiS1_IjLj3EES5_S5_S5_ ; -- Begin function _ZL33flash_attn_stream_k_fixup_generalILi64ELi1ELi1EEvPfPK15HIP_vector_typeIfLj2EEiiiiS1_IjLj3EES5_S5_S5_
	.p2align	8
	.type	_ZL33flash_attn_stream_k_fixup_generalILi64ELi1ELi1EEvPfPK15HIP_vector_typeIfLj2EEiiiiS1_IjLj3EES5_S5_S5_,@function
_ZL33flash_attn_stream_k_fixup_generalILi64ELi1ELi1EEvPfPK15HIP_vector_typeIfLj2EEiiiiS1_IjLj3EES5_S5_S5_: ; @_ZL33flash_attn_stream_k_fixup_generalILi64ELi1ELi1EEvPfPK15HIP_vector_typeIfLj2EEiiiiS1_IjLj3EES5_S5_S5_
; %bb.0:
	s_load_dwordx4 s[8:11], s[0:1], 0x10
	s_load_dword s22, s[0:1], 0x50
	s_mov_b32 s12, 0
	s_waitcnt lgkmcnt(0)
	s_mul_hi_i32 s13, s11, s2
	s_cmp_lg_u64 s[12:13], 0
	s_mul_i32 s5, s11, s2
	s_cbranch_scc0 .LBB3_20
; %bb.1:
	s_add_u32 s6, s22, 0
	s_addc_u32 s7, 0, 0
	s_xor_b64 s[6:7], s[6:7], 0
	v_cvt_f32_u32_e32 v1, s6
	v_cvt_f32_u32_e32 v2, s7
	s_sub_u32 s12, 0, s6
	s_subb_u32 s18, 0, s7
	v_fmamk_f32 v1, v2, 0x4f800000, v1
	v_rcp_f32_e32 v1, v1
	s_nop 0
	v_mul_f32_e32 v1, 0x5f7ffffc, v1
	v_mul_f32_e32 v2, 0x2f800000, v1
	v_trunc_f32_e32 v2, v2
	v_fmamk_f32 v1, v2, 0xcf800000, v1
	v_cvt_u32_f32_e32 v2, v2
	v_cvt_u32_f32_e32 v1, v1
	v_readfirstlane_b32 s19, v2
	v_readfirstlane_b32 s14, v1
	s_mul_i32 s15, s12, s19
	s_mul_hi_u32 s21, s12, s14
	s_mul_i32 s20, s18, s14
	s_add_i32 s15, s21, s15
	s_add_i32 s15, s15, s20
	s_mul_i32 s23, s12, s14
	s_mul_i32 s21, s14, s15
	s_mul_hi_u32 s24, s14, s23
	s_mul_hi_u32 s20, s14, s15
	s_add_u32 s21, s24, s21
	s_addc_u32 s20, 0, s20
	s_mul_hi_u32 s25, s19, s23
	s_mul_i32 s23, s19, s23
	s_add_u32 s21, s21, s23
	s_mul_hi_u32 s24, s19, s15
	s_addc_u32 s20, s20, s25
	s_addc_u32 s21, s24, 0
	s_mul_i32 s15, s19, s15
	s_add_u32 s15, s20, s15
	s_addc_u32 s20, 0, s21
	s_add_u32 s21, s14, s15
	s_cselect_b64 s[14:15], -1, 0
	s_cmp_lg_u64 s[14:15], 0
	s_addc_u32 s19, s19, s20
	s_mul_i32 s14, s12, s19
	s_mul_hi_u32 s15, s12, s21
	s_add_i32 s14, s15, s14
	s_mul_i32 s18, s18, s21
	s_add_i32 s14, s14, s18
	s_mul_i32 s12, s12, s21
	s_mul_hi_u32 s18, s19, s12
	s_mul_i32 s20, s19, s12
	s_mul_i32 s24, s21, s14
	s_mul_hi_u32 s12, s21, s12
	s_mul_hi_u32 s23, s21, s14
	s_add_u32 s12, s12, s24
	s_addc_u32 s23, 0, s23
	s_add_u32 s12, s12, s20
	s_mul_hi_u32 s15, s19, s14
	s_addc_u32 s12, s23, s18
	s_addc_u32 s15, s15, 0
	s_mul_i32 s14, s19, s14
	s_add_u32 s12, s12, s14
	s_addc_u32 s18, 0, s15
	s_add_u32 s20, s21, s12
	s_cselect_b64 s[14:15], -1, 0
	s_cmp_lg_u64 s[14:15], 0
	s_addc_u32 s18, s19, s18
	s_ashr_i32 s14, s13, 31
	s_add_u32 s12, s5, s14
	s_mov_b32 s15, s14
	s_addc_u32 s13, s13, s14
	s_xor_b64 s[12:13], s[12:13], s[14:15]
	s_mul_i32 s21, s12, s18
	s_mul_hi_u32 s23, s12, s20
	s_mul_hi_u32 s19, s12, s18
	s_add_u32 s21, s23, s21
	s_addc_u32 s19, 0, s19
	s_mul_hi_u32 s24, s13, s20
	s_mul_i32 s20, s13, s20
	s_add_u32 s20, s21, s20
	s_mul_hi_u32 s23, s13, s18
	s_addc_u32 s19, s19, s24
	s_addc_u32 s20, s23, 0
	s_mul_i32 s18, s13, s18
	s_add_u32 s23, s19, s18
	s_addc_u32 s24, 0, s20
	s_mul_i32 s18, s6, s24
	s_mul_hi_u32 s19, s6, s23
	s_add_i32 s18, s19, s18
	s_mul_i32 s19, s7, s23
	s_add_i32 s25, s18, s19
	s_sub_i32 s20, s13, s25
	s_mul_i32 s18, s6, s23
	s_sub_u32 s12, s12, s18
	s_cselect_b64 s[18:19], -1, 0
	s_cmp_lg_u64 s[18:19], 0
	s_subb_u32 s26, s20, s7
	s_sub_u32 s27, s12, s6
	s_cselect_b64 s[20:21], -1, 0
	s_cmp_lg_u64 s[20:21], 0
	s_subb_u32 s20, s26, 0
	s_cmp_ge_u32 s20, s7
	s_cselect_b32 s21, -1, 0
	s_cmp_ge_u32 s27, s6
	s_cselect_b32 s26, -1, 0
	s_cmp_eq_u32 s20, s7
	s_cselect_b32 s20, s26, s21
	s_add_u32 s21, s23, 1
	s_addc_u32 s26, s24, 0
	s_add_u32 s27, s23, 2
	s_addc_u32 s28, s24, 0
	s_cmp_lg_u32 s20, 0
	s_cselect_b32 s20, s27, s21
	s_cselect_b32 s21, s28, s26
	s_cmp_lg_u64 s[18:19], 0
	s_subb_u32 s13, s13, s25
	s_cmp_ge_u32 s13, s7
	s_cselect_b32 s18, -1, 0
	s_cmp_ge_u32 s12, s6
	s_cselect_b32 s6, -1, 0
	s_cmp_eq_u32 s13, s7
	s_cselect_b32 s6, s6, s18
	s_cmp_lg_u32 s6, 0
	s_cselect_b32 s7, s21, s24
	s_cselect_b32 s6, s20, s23
	s_xor_b64 s[12:13], s[14:15], 0
	s_xor_b64 s[6:7], s[6:7], s[12:13]
	s_sub_u32 s6, s6, s12
	s_load_dwordx4 s[12:15], s[0:1], 0x44
	s_cbranch_execnz .LBB3_3
.LBB3_2:
	v_cvt_f32_u32_e32 v1, s22
	s_sub_i32 s6, 0, s22
	v_rcp_iflag_f32_e32 v1, v1
	s_nop 0
	v_mul_f32_e32 v1, 0x4f7ffffe, v1
	v_cvt_u32_f32_e32 v1, v1
	s_nop 0
	v_readfirstlane_b32 s7, v1
	s_mul_i32 s6, s6, s7
	s_mul_hi_u32 s6, s7, s6
	s_add_i32 s7, s7, s6
	s_mul_hi_u32 s6, s5, s7
	s_waitcnt lgkmcnt(0)
	s_mul_i32 s15, s6, s22
	s_sub_i32 s5, s5, s15
	s_add_i32 s7, s6, 1
	s_sub_i32 s15, s5, s22
	s_cmp_ge_u32 s5, s22
	s_cselect_b32 s6, s7, s6
	s_cselect_b32 s5, s15, s5
	s_add_i32 s7, s6, 1
	s_cmp_ge_u32 s5, s22
	s_cselect_b32 s6, s7, s6
.LBB3_3:
	s_add_i32 s5, s2, 1
	s_mul_hi_i32 s21, s11, s5
	s_mov_b32 s20, 0
	s_cmp_lg_u64 s[20:21], 0
	s_mul_i32 s5, s11, s5
	s_cbranch_scc0 .LBB3_21
; %bb.4:
	s_add_u32 s16, s22, 0
	s_addc_u32 s17, 0, 0
	s_xor_b64 s[18:19], s[16:17], 0
	v_cvt_f32_u32_e32 v1, s18
	v_cvt_f32_u32_e32 v2, s19
	s_sub_u32 s7, 0, s18
	s_waitcnt lgkmcnt(0)
	s_subb_u32 s15, 0, s19
	v_fmamk_f32 v1, v2, 0x4f800000, v1
	v_rcp_f32_e32 v1, v1
	s_nop 0
	v_mul_f32_e32 v1, 0x5f7ffffc, v1
	v_mul_f32_e32 v2, 0x2f800000, v1
	v_trunc_f32_e32 v2, v2
	v_fmamk_f32 v1, v2, 0xcf800000, v1
	v_cvt_u32_f32_e32 v2, v2
	v_cvt_u32_f32_e32 v1, v1
	v_readfirstlane_b32 s20, v2
	v_readfirstlane_b32 s23, v1
	s_mul_i32 s24, s7, s20
	s_mul_hi_u32 s26, s7, s23
	s_mul_i32 s25, s15, s23
	s_add_i32 s24, s26, s24
	s_add_i32 s24, s24, s25
	s_mul_i32 s27, s7, s23
	s_mul_i32 s26, s23, s24
	s_mul_hi_u32 s28, s23, s27
	s_mul_hi_u32 s25, s23, s24
	s_add_u32 s26, s28, s26
	s_addc_u32 s25, 0, s25
	s_mul_hi_u32 s29, s20, s27
	s_mul_i32 s27, s20, s27
	s_add_u32 s26, s26, s27
	s_mul_hi_u32 s28, s20, s24
	s_addc_u32 s25, s25, s29
	s_addc_u32 s26, s28, 0
	s_mul_i32 s24, s20, s24
	s_add_u32 s24, s25, s24
	s_addc_u32 s26, 0, s26
	s_add_u32 s23, s23, s24
	s_cselect_b64 s[24:25], -1, 0
	s_cmp_lg_u64 s[24:25], 0
	s_addc_u32 s20, s20, s26
	s_mul_i32 s24, s7, s20
	s_mul_hi_u32 s25, s7, s23
	s_add_i32 s24, s25, s24
	s_mul_i32 s15, s15, s23
	s_add_i32 s24, s24, s15
	s_mul_i32 s7, s7, s23
	s_mul_hi_u32 s25, s20, s7
	s_mul_i32 s26, s20, s7
	s_mul_i32 s28, s23, s24
	s_mul_hi_u32 s7, s23, s7
	s_mul_hi_u32 s27, s23, s24
	s_add_u32 s7, s7, s28
	s_addc_u32 s27, 0, s27
	s_add_u32 s7, s7, s26
	s_mul_hi_u32 s15, s20, s24
	s_addc_u32 s7, s27, s25
	s_addc_u32 s15, s15, 0
	s_mul_i32 s24, s20, s24
	s_add_u32 s7, s7, s24
	s_addc_u32 s15, 0, s15
	s_add_u32 s7, s23, s7
	s_cselect_b64 s[24:25], -1, 0
	s_cmp_lg_u64 s[24:25], 0
	s_addc_u32 s15, s20, s15
	s_ashr_i32 s24, s21, 31
	s_add_u32 s20, s5, s24
	s_mov_b32 s25, s24
	s_addc_u32 s21, s21, s24
	s_xor_b64 s[20:21], s[20:21], s[24:25]
	s_mul_i32 s26, s20, s15
	s_mul_hi_u32 s27, s20, s7
	s_mul_hi_u32 s23, s20, s15
	s_add_u32 s26, s27, s26
	s_addc_u32 s23, 0, s23
	s_mul_hi_u32 s28, s21, s7
	s_mul_i32 s7, s21, s7
	s_add_u32 s7, s26, s7
	s_mul_hi_u32 s27, s21, s15
	s_addc_u32 s7, s23, s28
	s_addc_u32 s23, s27, 0
	s_mul_i32 s15, s21, s15
	s_add_u32 s7, s7, s15
	s_addc_u32 s15, 0, s23
	s_mul_i32 s23, s18, s15
	s_mul_hi_u32 s26, s18, s7
	s_add_i32 s23, s26, s23
	s_mul_i32 s26, s19, s7
	s_add_i32 s23, s23, s26
	s_sub_i32 s28, s21, s23
	s_mul_i32 s26, s18, s7
	s_sub_u32 s20, s20, s26
	s_cselect_b64 s[26:27], -1, 0
	s_cmp_lg_u64 s[26:27], 0
	s_subb_u32 s30, s28, s19
	s_sub_u32 s31, s20, s18
	s_cselect_b64 s[28:29], -1, 0
	s_cmp_lg_u64 s[28:29], 0
	s_subb_u32 s28, s30, 0
	s_cmp_ge_u32 s28, s19
	s_cselect_b32 s29, -1, 0
	s_cmp_ge_u32 s31, s18
	s_cselect_b32 s30, -1, 0
	s_cmp_eq_u32 s28, s19
	s_cselect_b32 s28, s30, s29
	s_add_u32 s29, s7, 1
	s_addc_u32 s30, s15, 0
	s_add_u32 s31, s7, 2
	s_addc_u32 s33, s15, 0
	s_cmp_lg_u32 s28, 0
	s_cselect_b32 s28, s31, s29
	s_cselect_b32 s29, s33, s30
	s_cmp_lg_u64 s[26:27], 0
	s_subb_u32 s21, s21, s23
	s_cmp_ge_u32 s21, s19
	s_cselect_b32 s23, -1, 0
	s_cmp_ge_u32 s20, s18
	s_cselect_b32 s18, -1, 0
	s_cmp_eq_u32 s21, s19
	s_cselect_b32 s18, s18, s23
	s_cmp_lg_u32 s18, 0
	s_cselect_b32 s19, s29, s15
	s_cselect_b32 s18, s28, s7
	s_xor_b64 s[20:21], s[24:25], 0
	s_xor_b64 s[18:19], s[18:19], s[20:21]
	s_sub_u32 s18, s18, s20
	s_cbranch_execnz .LBB3_6
.LBB3_5:
	v_cvt_f32_u32_e32 v1, s22
	s_sub_i32 s7, 0, s22
	v_rcp_iflag_f32_e32 v1, v1
	s_nop 0
	v_mul_f32_e32 v1, 0x4f7ffffe, v1
	v_cvt_u32_f32_e32 v1, v1
	s_waitcnt lgkmcnt(0)
	v_readfirstlane_b32 s15, v1
	s_mul_i32 s7, s7, s15
	s_mul_hi_u32 s7, s15, s7
	s_add_i32 s15, s15, s7
	s_mul_hi_u32 s7, s5, s15
	s_mul_i32 s16, s7, s22
	s_sub_i32 s5, s5, s16
	s_add_i32 s15, s7, 1
	s_sub_i32 s16, s5, s22
	s_cmp_ge_u32 s5, s22
	s_cselect_b32 s7, s15, s7
	s_cselect_b32 s5, s16, s5
	s_add_i32 s15, s7, 1
	s_cmp_ge_u32 s5, s22
	s_cselect_b32 s18, s15, s7
.LBB3_6:
	s_cmp_eq_u32 s6, s18
	s_waitcnt lgkmcnt(0)
	s_mul_hi_u32 s5, s6, s12
	s_cselect_b64 s[16:17], -1, 0
	s_add_i32 s5, s5, s6
	s_lshr_b32 s7, s5, s13
	s_mul_i32 s5, s7, s14
	s_cmp_eq_u32 s5, s6
	s_mul_hi_u32 s5, s18, s12
	s_cselect_b64 s[20:21], -1, 0
	s_add_i32 s5, s5, s18
	s_lshr_b32 s5, s5, s13
	s_cmp_eq_u32 s7, s5
	s_mul_i32 s5, s5, s14
	s_cselect_b64 s[24:25], -1, 0
	s_cmp_lg_u32 s5, s18
	s_cselect_b64 s[18:19], -1, 0
	s_and_b64 s[18:19], s[24:25], s[18:19]
	s_or_b64 s[16:17], s[16:17], s[20:21]
	s_or_b64 s[16:17], s[16:17], s[18:19]
	s_and_b64 vcc, exec, s[16:17]
	s_cbranch_vccnz .LBB3_23
; %bb.7:
	s_load_dwordx8 s[24:31], s[0:1], 0x20
	s_load_dword s5, s[0:1], 0x40
	s_waitcnt lgkmcnt(0)
	s_mul_hi_u32 s15, s6, s24
	s_add_i32 s15, s15, s6
	s_lshr_b32 s20, s15, s25
	s_mul_i32 s15, s20, s26
	s_sub_i32 s15, s6, s15
	s_mul_hi_u32 s16, s15, s27
	s_add_i32 s16, s15, s16
	s_lshr_b32 s21, s16, s28
	s_mul_i32 s16, s21, s29
	s_sub_i32 s15, s15, s16
	s_mul_hi_u32 s16, s15, s30
	s_add_i32 s16, s15, s16
	s_lshr_b32 s24, s16, s31
	s_mul_i32 s5, s24, s5
	s_sub_i32 s5, s15, s5
	s_mul_hi_u32 s15, s5, s12
	s_add_i32 s5, s5, s15
	s_lshr_b32 s23, s5, s13
	s_add_i32 s23, s23, s3
	s_cmp_lt_i32 s23, s8
	s_cselect_b64 s[16:17], -1, 0
	s_add_i32 s24, s24, s4
	s_cmp_lt_i32 s24, s10
	s_cselect_b64 s[18:19], -1, 0
	s_and_b64 s[16:17], s[16:17], s[18:19]
	s_andn2_b64 vcc, exec, s[16:17]
	s_cbranch_vccnz .LBB3_23
; %bb.8:
	s_load_dwordx4 s[16:19], s[0:1], 0x0
	s_mov_b32 s0, 0
	s_add_i32 s15, s3, s4
	s_lshl_b32 s4, s22, 2
	s_mov_b32 s5, s0
	s_lshl_b64 s[4:5], s[4:5], 2
	s_waitcnt lgkmcnt(0)
	s_add_u32 s4, s18, s4
	s_mul_i32 s20, s20, s8
	s_addc_u32 s5, s19, s5
	s_mul_i32 s21, s21, s10
	s_add_i32 s1, s23, s20
	s_mul_i32 s1, s1, s9
	s_add_i32 s3, s24, s21
	s_add_i32 s3, s3, s1
	v_lshl_or_b32 v4, s3, 6, v0
	v_mov_b32_e32 v2, s16
	v_mov_b32_e32 v3, s17
	v_ashrrev_i32_e32 v5, 31, v4
	v_lshl_add_u64 v[2:3], v[4:5], 2, v[2:3]
	global_load_dword v5, v[2:3], off
	v_cvt_f32_u32_e32 v1, s22
	s_add_i32 s8, s15, s2
	s_ashr_i32 s9, s8, 31
	s_lshl_b64 s[8:9], s[8:9], 3
	v_rcp_iflag_f32_e32 v1, v1
	s_add_u32 s8, s18, s8
	s_addc_u32 s9, s19, s9
	s_load_dwordx2 s[8:9], s[8:9], 0x0
	v_mul_f32_e32 v1, 0x4f7ffffe, v1
	v_cvt_u32_f32_e32 v1, v1
	s_add_i32 s24, s2, -1
	s_mov_b32 s10, 0x3fb8aa3b
	s_waitcnt lgkmcnt(0)
	v_mov_b32_e32 v4, s9
	v_mov_b32_e32 v9, s8
	s_mov_b32 s20, 0xc2ce8ed0
	s_mov_b32 s21, 0x42b17218
	;; [unrolled: 1-line block ×3, first 2 shown]
	v_mov_b32_e32 v8, 0x7f800000
	s_mul_hi_i32 s1, s24, s11
	s_cmp_lg_u64 s[0:1], 0
	s_mul_i32 s16, s24, s11
	s_cbranch_scc0 .LBB3_19
.LBB3_9:
	s_add_u32 s2, s22, 0
	s_addc_u32 s3, 0, 0
	s_xor_b64 s[2:3], s[2:3], 0
	v_cvt_f32_u32_e32 v6, s2
	v_cvt_f32_u32_e32 v7, s3
	s_sub_u32 s17, 0, s2
	s_subb_u32 s25, 0, s3
	v_fmac_f32_e32 v6, 0x4f800000, v7
	v_rcp_f32_e32 v6, v6
	s_nop 0
	v_mul_f32_e32 v6, 0x5f7ffffc, v6
	v_mul_f32_e32 v7, 0x2f800000, v6
	v_trunc_f32_e32 v7, v7
	v_fmac_f32_e32 v6, 0xcf800000, v7
	v_cvt_u32_f32_e32 v7, v7
	v_cvt_u32_f32_e32 v6, v6
	v_readfirstlane_b32 s26, v7
	v_readfirstlane_b32 s8, v6
	s_mul_i32 s9, s17, s26
	s_mul_hi_u32 s28, s17, s8
	s_mul_i32 s27, s25, s8
	s_add_i32 s9, s28, s9
	s_mul_i32 s29, s17, s8
	s_add_i32 s9, s9, s27
	s_mul_i32 s28, s8, s9
	s_mul_hi_u32 s30, s8, s29
	s_mul_hi_u32 s27, s8, s9
	s_add_u32 s28, s30, s28
	s_addc_u32 s27, 0, s27
	s_mul_hi_u32 s31, s26, s29
	s_mul_i32 s29, s26, s29
	s_add_u32 s28, s28, s29
	s_mul_hi_u32 s30, s26, s9
	s_addc_u32 s27, s27, s31
	s_addc_u32 s28, s30, 0
	s_mul_i32 s9, s26, s9
	s_add_u32 s9, s27, s9
	s_addc_u32 s27, 0, s28
	s_add_u32 s28, s8, s9
	s_cselect_b64 s[8:9], -1, 0
	s_cmp_lg_u64 s[8:9], 0
	s_addc_u32 s26, s26, s27
	s_mul_i32 s8, s17, s26
	s_mul_hi_u32 s9, s17, s28
	s_add_i32 s8, s9, s8
	s_mul_i32 s25, s25, s28
	s_add_i32 s8, s8, s25
	s_mul_i32 s17, s17, s28
	s_mul_hi_u32 s25, s26, s17
	s_mul_i32 s27, s26, s17
	s_mul_i32 s30, s28, s8
	s_mul_hi_u32 s17, s28, s17
	s_mul_hi_u32 s29, s28, s8
	s_add_u32 s17, s17, s30
	s_addc_u32 s29, 0, s29
	s_add_u32 s17, s17, s27
	s_mul_hi_u32 s9, s26, s8
	s_addc_u32 s17, s29, s25
	s_addc_u32 s9, s9, 0
	s_mul_i32 s8, s26, s8
	s_add_u32 s8, s17, s8
	s_addc_u32 s17, 0, s9
	s_add_u32 s25, s28, s8
	s_cselect_b64 s[8:9], -1, 0
	s_cmp_lg_u64 s[8:9], 0
	s_addc_u32 s17, s26, s17
	s_ashr_i32 s8, s1, 31
	s_add_u32 s26, s16, s8
	s_mov_b32 s9, s8
	s_addc_u32 s27, s1, s8
	s_xor_b64 s[26:27], s[26:27], s[8:9]
	s_mul_i32 s28, s26, s17
	s_mul_hi_u32 s29, s26, s25
	s_mul_hi_u32 s1, s26, s17
	s_add_u32 s28, s29, s28
	s_addc_u32 s1, 0, s1
	s_mul_hi_u32 s30, s27, s25
	s_mul_i32 s25, s27, s25
	s_add_u32 s25, s28, s25
	s_mul_hi_u32 s29, s27, s17
	s_addc_u32 s1, s1, s30
	s_addc_u32 s25, s29, 0
	s_mul_i32 s17, s27, s17
	s_add_u32 s1, s1, s17
	s_addc_u32 s17, 0, s25
	s_mul_i32 s25, s2, s17
	s_mul_hi_u32 s28, s2, s1
	s_add_i32 s25, s28, s25
	s_mul_i32 s28, s3, s1
	s_add_i32 s25, s25, s28
	s_sub_i32 s30, s27, s25
	s_mul_i32 s28, s2, s1
	s_sub_u32 s26, s26, s28
	s_cselect_b64 s[28:29], -1, 0
	s_cmp_lg_u64 s[28:29], 0
	s_subb_u32 s33, s30, s3
	s_sub_u32 s34, s26, s2
	s_cselect_b64 s[30:31], -1, 0
	s_cmp_lg_u64 s[30:31], 0
	s_subb_u32 s30, s33, 0
	s_cmp_ge_u32 s30, s3
	s_cselect_b32 s31, -1, 0
	s_cmp_ge_u32 s34, s2
	s_cselect_b32 s33, -1, 0
	s_cmp_eq_u32 s30, s3
	s_cselect_b32 s30, s33, s31
	s_add_u32 s31, s1, 1
	s_addc_u32 s33, s17, 0
	s_add_u32 s34, s1, 2
	s_addc_u32 s35, s17, 0
	s_cmp_lg_u32 s30, 0
	s_cselect_b32 s30, s34, s31
	s_cselect_b32 s31, s35, s33
	s_cmp_lg_u64 s[28:29], 0
	s_subb_u32 s25, s27, s25
	s_cmp_ge_u32 s25, s3
	s_cselect_b32 s27, -1, 0
	s_cmp_ge_u32 s26, s2
	s_cselect_b32 s2, -1, 0
	s_cmp_eq_u32 s25, s3
	s_cselect_b32 s2, s2, s27
	s_cmp_lg_u32 s2, 0
	s_cselect_b32 s3, s31, s17
	s_cselect_b32 s2, s30, s1
	s_xor_b64 s[8:9], s[8:9], 0
	s_xor_b64 s[2:3], s[2:3], s[8:9]
	s_sub_u32 s8, s2, s8
	s_cbranch_execnz .LBB3_11
.LBB3_10:
	s_sub_i32 s1, 0, s22
	v_readfirstlane_b32 s2, v1
	s_mul_i32 s1, s1, s2
	s_mul_hi_u32 s1, s2, s1
	s_add_i32 s2, s2, s1
	s_mul_hi_u32 s1, s16, s2
	s_mul_i32 s3, s1, s22
	s_sub_i32 s3, s16, s3
	s_add_i32 s2, s1, 1
	s_sub_i32 s8, s3, s22
	s_cmp_ge_u32 s3, s22
	s_cselect_b32 s1, s2, s1
	s_cselect_b32 s3, s8, s3
	s_add_i32 s2, s1, 1
	s_cmp_ge_u32 s3, s22
	s_cselect_b32 s8, s2, s1
.LBB3_11:
	s_cmp_lg_u32 s6, s8
	s_cbranch_scc0 .LBB3_15
; %bb.12:
	s_add_i32 s9, s24, s15
	s_add_i32 s2, s9, s22
	s_mov_b32 s3, s0
	s_lshl_b64 s[2:3], s[2:3], 3
	s_add_u32 s16, s18, s2
	s_mul_hi_u32 s1, s8, s12
	s_addc_u32 s17, s19, s3
	s_add_i32 s1, s1, s8
	s_lshr_b32 s1, s1, s13
	s_mul_i32 s2, s1, s14
	s_cmp_eq_u32 s2, s8
	s_cselect_b64 s[2:3], -1, 0
	s_cmp_lt_u32 s1, s7
	s_cselect_b64 s[26:27], -1, 0
	s_or_b64 s[26:27], s[26:27], s[2:3]
	s_mov_b64 s[2:3], -1
	s_and_b64 vcc, exec, s[26:27]
	s_mov_b32 s1, s24
	s_mov_b32 s25, s6
	s_cbranch_vccnz .LBB3_14
; %bb.13:
	s_add_i32 s1, s24, -1
	s_mov_b64 s[2:3], 0
	s_mov_b32 s25, s8
.LBB3_14:
	v_lshl_or_b32 v6, s9, 6, v0
	v_ashrrev_i32_e32 v7, 31, v6
	v_lshl_add_u64 v[6:7], v[6:7], 2, s[4:5]
	global_load_dword v7, v[6:7], off
	s_load_dwordx2 s[8:9], s[16:17], 0x0
	v_max_f32_e32 v6, v9, v9
	s_waitcnt lgkmcnt(0)
	v_max_f32_e64 v10, s8, s8
	v_max_f32_e32 v10, v6, v10
	v_sub_f32_e32 v11, v9, v10
	v_sub_f32_e32 v13, s8, v10
	v_mul_f32_e32 v6, 0x3fb8aa3b, v11
	v_mul_f32_e32 v12, 0x3fb8aa3b, v13
	v_fma_f32 v14, v11, s10, -v6
	v_rndne_f32_e32 v15, v6
	v_fma_f32 v16, v13, s10, -v12
	v_rndne_f32_e32 v17, v12
	v_fmac_f32_e32 v14, 0x32a5705f, v11
	v_sub_f32_e32 v6, v6, v15
	v_fmac_f32_e32 v16, 0x32a5705f, v13
	v_sub_f32_e32 v12, v12, v17
	v_add_f32_e32 v6, v6, v14
	v_cvt_i32_f32_e32 v15, v15
	v_add_f32_e32 v12, v12, v16
	v_exp_f32_e32 v14, v6
	v_cvt_i32_f32_e32 v17, v17
	v_exp_f32_e32 v12, v12
	v_cmp_ngt_f32_e32 vcc, s20, v11
	v_ldexp_f32 v14, v14, v15
	v_mov_b32_e32 v6, s9
	v_ldexp_f32 v12, v12, v17
	v_cndmask_b32_e32 v14, 0, v14, vcc
	v_cmp_ngt_f32_e32 vcc, s20, v13
	s_nop 1
	v_cndmask_b32_e32 v12, 0, v12, vcc
	v_cmp_nlt_f32_e32 vcc, s21, v11
	s_nop 1
	v_cndmask_b32_e32 v14, v8, v14, vcc
	v_cmp_nlt_f32_e32 vcc, s21, v13
	s_nop 1
	v_cndmask_b32_e32 v15, v8, v12, vcc
	v_cmp_le_f32_e32 vcc, s23, v11
	s_nop 1
	v_cndmask_b32_e32 v12, 0, v14, vcc
	v_cmp_le_f32_e32 vcc, s23, v13
	s_nop 1
	v_cndmask_b32_e32 v14, 0, v15, vcc
	s_waitcnt vmcnt(0)
	v_pk_mul_f32 v[6:7], v[6:7], v[14:15] op_sel_hi:[1,0]
	s_nop 0
	v_pk_fma_f32 v[6:7], v[4:5], v[12:13], v[6:7] op_sel_hi:[1,0,1]
	s_cbranch_execz .LBB3_16
	s_branch .LBB3_17
.LBB3_15:
                                        ; implicit-def: $vgpr6_vgpr7
                                        ; implicit-def: $sgpr2_sgpr3
                                        ; implicit-def: $vgpr10
                                        ; implicit-def: $sgpr1
                                        ; implicit-def: $sgpr25
.LBB3_16:
	s_add_i32 s1, s24, -1
	s_mov_b64 s[2:3], 0
	s_mov_b32 s25, s6
	v_mov_b32_e32 v10, v9
	s_waitcnt vmcnt(0)
	v_mov_b64_e32 v[6:7], v[4:5]
.LBB3_17:
	s_andn2_b64 vcc, exec, s[2:3]
	s_cbranch_vccz .LBB3_22
; %bb.18:
	s_mov_b32 s6, s25
	s_mov_b32 s24, s1
	v_mov_b32_e32 v9, v10
	s_waitcnt vmcnt(0)
	v_mov_b64_e32 v[4:5], v[6:7]
	s_mul_hi_i32 s1, s24, s11
	s_cmp_lg_u64 s[0:1], 0
	s_mul_i32 s16, s24, s11
	s_cbranch_scc1 .LBB3_9
.LBB3_19:
                                        ; implicit-def: $sgpr8_sgpr9
	s_branch .LBB3_10
.LBB3_20:
                                        ; implicit-def: $sgpr6_sgpr7
	s_load_dwordx4 s[12:15], s[0:1], 0x44
	s_branch .LBB3_2
.LBB3_21:
                                        ; implicit-def: $sgpr18_sgpr19
	s_branch .LBB3_5
.LBB3_22:
	v_div_scale_f32 v0, s[0:1], v6, v6, v7
	v_rcp_f32_e32 v1, v0
	v_div_scale_f32 v4, vcc, v7, v6, v7
	s_waitcnt vmcnt(0)
	v_fma_f32 v5, -v0, v1, 1.0
	v_fmac_f32_e32 v1, v5, v1
	v_mul_f32_e32 v5, v4, v1
	v_fma_f32 v8, -v0, v5, v4
	v_fmac_f32_e32 v5, v8, v1
	v_fma_f32 v0, -v0, v5, v4
	v_div_fmas_f32 v0, v0, v1, v5
	v_div_fixup_f32 v0, v0, v6, v7
	global_store_dword v[2:3], v0, off
.LBB3_23:
	s_endpgm
	.section	.rodata,"a",@progbits
	.p2align	6, 0x0
	.amdhsa_kernel _ZL33flash_attn_stream_k_fixup_generalILi64ELi1ELi1EEvPfPK15HIP_vector_typeIfLj2EEiiiiS1_IjLj3EES5_S5_S5_
		.amdhsa_group_segment_fixed_size 0
		.amdhsa_private_segment_fixed_size 0
		.amdhsa_kernarg_size 336
		.amdhsa_user_sgpr_count 2
		.amdhsa_user_sgpr_dispatch_ptr 0
		.amdhsa_user_sgpr_queue_ptr 0
		.amdhsa_user_sgpr_kernarg_segment_ptr 1
		.amdhsa_user_sgpr_dispatch_id 0
		.amdhsa_user_sgpr_kernarg_preload_length 0
		.amdhsa_user_sgpr_kernarg_preload_offset 0
		.amdhsa_user_sgpr_private_segment_size 0
		.amdhsa_uses_dynamic_stack 0
		.amdhsa_enable_private_segment 0
		.amdhsa_system_sgpr_workgroup_id_x 1
		.amdhsa_system_sgpr_workgroup_id_y 1
		.amdhsa_system_sgpr_workgroup_id_z 1
		.amdhsa_system_sgpr_workgroup_info 0
		.amdhsa_system_vgpr_workitem_id 0
		.amdhsa_next_free_vgpr 18
		.amdhsa_next_free_sgpr 36
		.amdhsa_accum_offset 20
		.amdhsa_reserve_vcc 1
		.amdhsa_float_round_mode_32 0
		.amdhsa_float_round_mode_16_64 0
		.amdhsa_float_denorm_mode_32 3
		.amdhsa_float_denorm_mode_16_64 3
		.amdhsa_dx10_clamp 1
		.amdhsa_ieee_mode 1
		.amdhsa_fp16_overflow 0
		.amdhsa_tg_split 0
		.amdhsa_exception_fp_ieee_invalid_op 0
		.amdhsa_exception_fp_denorm_src 0
		.amdhsa_exception_fp_ieee_div_zero 0
		.amdhsa_exception_fp_ieee_overflow 0
		.amdhsa_exception_fp_ieee_underflow 0
		.amdhsa_exception_fp_ieee_inexact 0
		.amdhsa_exception_int_div_zero 0
	.end_amdhsa_kernel
	.section	.text._ZL33flash_attn_stream_k_fixup_generalILi64ELi1ELi1EEvPfPK15HIP_vector_typeIfLj2EEiiiiS1_IjLj3EES5_S5_S5_,"axG",@progbits,_ZL33flash_attn_stream_k_fixup_generalILi64ELi1ELi1EEvPfPK15HIP_vector_typeIfLj2EEiiiiS1_IjLj3EES5_S5_S5_,comdat
.Lfunc_end3:
	.size	_ZL33flash_attn_stream_k_fixup_generalILi64ELi1ELi1EEvPfPK15HIP_vector_typeIfLj2EEiiiiS1_IjLj3EES5_S5_S5_, .Lfunc_end3-_ZL33flash_attn_stream_k_fixup_generalILi64ELi1ELi1EEvPfPK15HIP_vector_typeIfLj2EEiiiiS1_IjLj3EES5_S5_S5_
                                        ; -- End function
	.set _ZL33flash_attn_stream_k_fixup_generalILi64ELi1ELi1EEvPfPK15HIP_vector_typeIfLj2EEiiiiS1_IjLj3EES5_S5_S5_.num_vgpr, 18
	.set _ZL33flash_attn_stream_k_fixup_generalILi64ELi1ELi1EEvPfPK15HIP_vector_typeIfLj2EEiiiiS1_IjLj3EES5_S5_S5_.num_agpr, 0
	.set _ZL33flash_attn_stream_k_fixup_generalILi64ELi1ELi1EEvPfPK15HIP_vector_typeIfLj2EEiiiiS1_IjLj3EES5_S5_S5_.numbered_sgpr, 36
	.set _ZL33flash_attn_stream_k_fixup_generalILi64ELi1ELi1EEvPfPK15HIP_vector_typeIfLj2EEiiiiS1_IjLj3EES5_S5_S5_.num_named_barrier, 0
	.set _ZL33flash_attn_stream_k_fixup_generalILi64ELi1ELi1EEvPfPK15HIP_vector_typeIfLj2EEiiiiS1_IjLj3EES5_S5_S5_.private_seg_size, 0
	.set _ZL33flash_attn_stream_k_fixup_generalILi64ELi1ELi1EEvPfPK15HIP_vector_typeIfLj2EEiiiiS1_IjLj3EES5_S5_S5_.uses_vcc, 1
	.set _ZL33flash_attn_stream_k_fixup_generalILi64ELi1ELi1EEvPfPK15HIP_vector_typeIfLj2EEiiiiS1_IjLj3EES5_S5_S5_.uses_flat_scratch, 0
	.set _ZL33flash_attn_stream_k_fixup_generalILi64ELi1ELi1EEvPfPK15HIP_vector_typeIfLj2EEiiiiS1_IjLj3EES5_S5_S5_.has_dyn_sized_stack, 0
	.set _ZL33flash_attn_stream_k_fixup_generalILi64ELi1ELi1EEvPfPK15HIP_vector_typeIfLj2EEiiiiS1_IjLj3EES5_S5_S5_.has_recursion, 0
	.set _ZL33flash_attn_stream_k_fixup_generalILi64ELi1ELi1EEvPfPK15HIP_vector_typeIfLj2EEiiiiS1_IjLj3EES5_S5_S5_.has_indirect_call, 0
	.section	.AMDGPU.csdata,"",@progbits
; Kernel info:
; codeLenInByte = 2896
; TotalNumSgprs: 42
; NumVgprs: 18
; NumAgprs: 0
; TotalNumVgprs: 18
; ScratchSize: 0
; MemoryBound: 0
; FloatMode: 240
; IeeeMode: 1
; LDSByteSize: 0 bytes/workgroup (compile time only)
; SGPRBlocks: 5
; VGPRBlocks: 2
; NumSGPRsForWavesPerEU: 42
; NumVGPRsForWavesPerEU: 18
; AccumOffset: 20
; Occupancy: 8
; WaveLimiterHint : 0
; COMPUTE_PGM_RSRC2:SCRATCH_EN: 0
; COMPUTE_PGM_RSRC2:USER_SGPR: 2
; COMPUTE_PGM_RSRC2:TRAP_HANDLER: 0
; COMPUTE_PGM_RSRC2:TGID_X_EN: 1
; COMPUTE_PGM_RSRC2:TGID_Y_EN: 1
; COMPUTE_PGM_RSRC2:TGID_Z_EN: 1
; COMPUTE_PGM_RSRC2:TIDIG_COMP_CNT: 0
; COMPUTE_PGM_RSRC3_GFX90A:ACCUM_OFFSET: 4
; COMPUTE_PGM_RSRC3_GFX90A:TG_SPLIT: 0
	.section	.text._ZL26flash_attn_combine_resultsILi64EEvPKfPK15HIP_vector_typeIfLj2EEPfi,"axG",@progbits,_ZL26flash_attn_combine_resultsILi64EEvPKfPK15HIP_vector_typeIfLj2EEPfi,comdat
	.globl	_ZL26flash_attn_combine_resultsILi64EEvPKfPK15HIP_vector_typeIfLj2EEPfi ; -- Begin function _ZL26flash_attn_combine_resultsILi64EEvPKfPK15HIP_vector_typeIfLj2EEPfi
	.p2align	8
	.type	_ZL26flash_attn_combine_resultsILi64EEvPKfPK15HIP_vector_typeIfLj2EEPfi,@function
_ZL26flash_attn_combine_resultsILi64EEvPKfPK15HIP_vector_typeIfLj2EEPfi: ; @_ZL26flash_attn_combine_resultsILi64EEvPKfPK15HIP_vector_typeIfLj2EEPfi
; %bb.0:
	s_load_dwordx2 s[6:7], s[0:1], 0x20
	s_load_dword s19, s[0:1], 0x18
	s_load_dwordx4 s[8:11], s[0:1], 0x0
	s_load_dwordx2 s[14:15], s[0:1], 0x10
	s_waitcnt lgkmcnt(0)
	s_mul_i32 s0, s6, s4
	s_add_i32 s0, s0, s2
	s_mul_i32 s18, s0, s7
	s_add_i32 s18, s18, s3
	s_lshl_b32 s20, s19, 1
	s_mul_i32 s2, s18, s19
	v_cmp_gt_i32_e32 vcc, s20, v0
	s_and_saveexec_b64 s[0:1], vcc
	s_cbranch_execz .LBB4_13
; %bb.1:
	v_xad_u32 v1, v0, -1, s20
	s_ashr_i32 s3, s2, 31
	v_cmp_lt_u32_e32 vcc, 63, v1
	s_mov_b64 s[6:7], -1
	v_mov_b32_e32 v2, v0
	s_and_saveexec_b64 s[4:5], vcc
	s_cbranch_execz .LBB4_10
; %bb.2:
	v_lshrrev_b32_e32 v6, 6, v1
	s_lshl_b64 s[6:7], s[2:3], 3
	v_add_u32_e32 v2, -1, v6
	s_add_u32 s6, s10, s6
	v_or_b32_e32 v1, 64, v0
	v_lshrrev_b32_e32 v3, 1, v2
	s_addc_u32 s7, s11, s7
	s_mov_b32 s21, 0
	v_add_u32_e32 v7, 1, v3
	v_cmp_lt_u32_e32 vcc, 13, v2
	v_mov_b32_e32 v4, 0
	v_mov_b64_e32 v[2:3], v[0:1]
	s_and_saveexec_b64 s[12:13], vcc
	s_cbranch_execz .LBB4_6
; %bb.3:
	v_and_b32_e32 v8, -8, v7
	v_lshl_add_u32 v9, v0, 2, 0
	s_mov_b64 s[16:17], 0
	v_mov_b32_e32 v5, 0
	v_mov_b64_e32 v[2:3], v[0:1]
.LBB4_4:                                ; =>This Inner Loop Header: Depth=1
	v_mov_b32_e32 v4, v2
	v_lshl_add_u64 v[24:25], v[4:5], 2, s[6:7]
	v_mov_b32_e32 v4, v3
	v_add_u32_e32 v10, 0x80, v3
	v_mov_b32_e32 v11, v5
	v_lshl_add_u64 v[26:27], v[4:5], 2, s[6:7]
	v_add_u32_e32 v4, 0x80, v2
	v_lshl_add_u64 v[10:11], v[10:11], 2, s[6:7]
	global_load_dword v1, v[24:25], off
	v_lshl_add_u64 v[24:25], v[4:5], 2, s[6:7]
	v_add_u32_e32 v4, 0x100, v2
	global_load_dword v28, v[26:27], off
	global_load_dword v29, v[24:25], off
	;; [unrolled: 1-line block ×3, first 2 shown]
	v_lshl_add_u64 v[10:11], v[4:5], 2, s[6:7]
	v_add_u32_e32 v4, 0x180, v2
	v_add_u32_e32 v12, 0x100, v3
	v_mov_b32_e32 v13, v5
	v_add_u32_e32 v14, 0x180, v3
	v_mov_b32_e32 v15, v5
	v_lshl_add_u64 v[24:25], v[4:5], 2, s[6:7]
	v_add_u32_e32 v4, 0x200, v2
	v_lshl_add_u64 v[12:13], v[12:13], 2, s[6:7]
	v_lshl_add_u64 v[14:15], v[14:15], 2, s[6:7]
	global_load_dword v26, v[10:11], off
	global_load_dword v27, v[12:13], off
	;; [unrolled: 1-line block ×4, first 2 shown]
	v_lshl_add_u64 v[10:11], v[4:5], 2, s[6:7]
	v_add_u32_e32 v4, 0x280, v2
	v_add_u32_e32 v16, 0x200, v3
	v_mov_b32_e32 v17, v5
	v_add_u32_e32 v18, 0x280, v3
	v_mov_b32_e32 v19, v5
	v_lshl_add_u64 v[12:13], v[4:5], 2, s[6:7]
	v_add_u32_e32 v4, 0x300, v2
	v_add_u32_e32 v20, 0x300, v3
	v_mov_b32_e32 v21, v5
	v_add_u32_e32 v22, 0x380, v3
	v_mov_b32_e32 v23, v5
	v_lshl_add_u64 v[16:17], v[16:17], 2, s[6:7]
	v_lshl_add_u64 v[18:19], v[18:19], 2, s[6:7]
	global_load_dword v14, v[10:11], off
	global_load_dword v15, v[16:17], off
	;; [unrolled: 1-line block ×4, first 2 shown]
	v_lshl_add_u64 v[10:11], v[4:5], 2, s[6:7]
	v_add_u32_e32 v4, 0x380, v2
	v_lshl_add_u64 v[20:21], v[20:21], 2, s[6:7]
	v_lshl_add_u64 v[22:23], v[22:23], 2, s[6:7]
	;; [unrolled: 1-line block ×3, first 2 shown]
	global_load_dword v16, v[10:11], off
	global_load_dword v17, v[20:21], off
	global_load_dword v18, v[12:13], off
	global_load_dword v19, v[22:23], off
	v_add_u32_e32 v8, -8, v8
	s_add_i32 s21, s21, 16
	v_cmp_eq_u32_e32 vcc, 0, v8
	v_add_u32_e32 v3, 0x400, v3
	v_mov_b32_e32 v4, s21
	s_or_b64 s[16:17], vcc, s[16:17]
	v_add_u32_e32 v2, 0x400, v2
	s_waitcnt vmcnt(14)
	ds_write2st64_b32 v9, v1, v28 offset1:1
	s_waitcnt vmcnt(12)
	ds_write2st64_b32 v9, v29, v30 offset0:2 offset1:3
	s_waitcnt vmcnt(10)
	ds_write2st64_b32 v9, v26, v27 offset0:4 offset1:5
	;; [unrolled: 2-line block ×7, first 2 shown]
	v_add_u32_e32 v9, 0x1000, v9
	s_andn2_b64 exec, exec, s[16:17]
	s_cbranch_execnz .LBB4_4
; %bb.5:
	s_or_b64 exec, exec, s[16:17]
.LBB4_6:
	s_or_b64 exec, exec, s[12:13]
	v_and_b32_e32 v1, 7, v7
	v_cmp_ne_u32_e32 vcc, 0, v1
	s_and_saveexec_b64 s[12:13], vcc
	s_cbranch_execz .LBB4_9
; %bb.7:
	v_lshlrev_b32_e32 v5, 2, v0
	v_lshl_or_b32 v4, v4, 8, v5
	v_add_u32_e32 v7, 0, v4
	s_mov_b64 s[16:17], 0
	v_mov_b32_e32 v5, 0
.LBB4_8:                                ; =>This Inner Loop Header: Depth=1
	v_mov_b32_e32 v4, v2
	v_lshl_add_u64 v[8:9], v[4:5], 2, s[6:7]
	v_mov_b32_e32 v4, v3
	v_lshl_add_u64 v[10:11], v[4:5], 2, s[6:7]
	global_load_dword v4, v[8:9], off
	global_load_dword v12, v[10:11], off
	v_add_u32_e32 v1, -1, v1
	v_cmp_eq_u32_e32 vcc, 0, v1
	v_add_u32_e32 v2, 0x80, v2
	v_add_u32_e32 v3, 0x80, v3
	s_or_b64 s[16:17], vcc, s[16:17]
	s_waitcnt vmcnt(0)
	ds_write2st64_b32 v7, v4, v12 offset1:1
	v_add_u32_e32 v7, 0x200, v7
	s_andn2_b64 exec, exec, s[16:17]
	s_cbranch_execnz .LBB4_8
.LBB4_9:
	s_or_b64 exec, exec, s[12:13]
	v_add_u32_e32 v1, 1, v6
	v_and_b32_e32 v3, 0x7fffffe, v1
	v_cmp_ne_u32_e32 vcc, v1, v3
	v_lshl_or_b32 v2, v3, 6, v0
	s_orn2_b64 s[6:7], vcc, exec
.LBB4_10:
	s_or_b64 exec, exec, s[4:5]
	s_and_b64 exec, exec, s[6:7]
	s_cbranch_execz .LBB4_13
; %bb.11:
	s_lshl_b64 s[4:5], s[2:3], 3
	s_add_u32 s4, s10, s4
	v_mov_b32_e32 v3, 0
	s_addc_u32 s5, s11, s5
	v_lshl_add_u64 v[4:5], v[2:3], 2, s[4:5]
	v_lshl_add_u32 v1, v2, 2, 0
	s_mov_b64 s[4:5], 0
	s_mov_b64 s[6:7], 0x100
.LBB4_12:                               ; =>This Inner Loop Header: Depth=1
	global_load_dword v3, v[4:5], off
	v_add_u32_e32 v2, 64, v2
	v_cmp_le_i32_e32 vcc, s20, v2
	v_lshl_add_u64 v[4:5], v[4:5], 0, s[6:7]
	s_or_b64 s[4:5], vcc, s[4:5]
	s_waitcnt vmcnt(0)
	ds_write_b32 v1, v3
	v_add_u32_e32 v1, 0x100, v1
	s_andn2_b64 exec, exec, s[4:5]
	s_cbranch_execnz .LBB4_12
.LBB4_13:
	s_or_b64 exec, exec, s[0:1]
	v_mov_b32_e32 v1, 0
	s_waitcnt lgkmcnt(0)
	; wave barrier
	ds_read_b32 v1, v1
	s_cmp_lt_i32 s19, 2
	s_cbranch_scc1 .LBB4_21
; %bb.14:
	s_cmp_eq_u32 s19, 2
	s_cbranch_scc1 .LBB4_18
; %bb.15:
	s_add_i32 s3, s19, -1
	s_and_b32 s4, s3, -2
	s_add_i32 s6, 0, 8
	s_mov_b32 s5, 2
	s_waitcnt lgkmcnt(0)
	v_mov_b32_e32 v4, v1
.LBB4_16:                               ; =>This Inner Loop Header: Depth=1
	v_mov_b32_e32 v2, v1
	v_mov_b32_e32 v1, s6
	;; [unrolled: 1-line block ×3, first 2 shown]
	ds_read2_b32 v[4:5], v1 offset1:2
	s_cmp_lg_u32 s4, s5
	s_cselect_b64 s[10:11], -1, 0
	v_max_f32_e32 v1, v3, v3
	v_max_f32_e32 v6, v2, v2
	s_waitcnt lgkmcnt(0)
	v_cmp_u_f32_e32 vcc, v5, v5
	v_max_f32_e32 v7, v5, v5
	v_max_f32_e32 v8, v4, v4
	v_cndmask_b32_e64 v5, 0, 1, vcc
	v_cmp_u_f32_e32 vcc, v4, v4
	v_readfirstlane_b32 s0, v5
	s_lshl_b32 s0, s0, 1
	v_cndmask_b32_e64 v9, 0, 1, vcc
	v_max_f32_e32 v4, v1, v7
	v_readfirstlane_b32 s1, v9
	s_or_b32 s0, s1, s0
	s_and_b32 s7, s0, 3
	s_cmp_lg_u32 s7, 0
	s_cselect_b64 s[0:1], -1, 0
	s_cmp_eq_u32 s7, 0
	s_cselect_b64 s[12:13], -1, 0
	s_and_b64 s[10:11], s[12:13], s[10:11]
	v_max_f32_e32 v1, v6, v8
	s_add_i32 s5, s5, 2
	s_add_i32 s6, s6, 16
	s_and_b64 vcc, exec, s[10:11]
	s_cbranch_vccnz .LBB4_16
; %bb.17:
	s_add_i32 s5, s5, -4
	s_and_b64 s[6:7], s[0:1], exec
	s_cselect_b32 s5, s5, s3
	s_or_b32 s5, s5, 1
	v_cndmask_b32_e64 v1, v1, v2, s[0:1]
	v_cndmask_b32_e64 v2, v4, v3, s[0:1]
	s_cmp_lg_u32 s3, s4
	v_max_f32_e32 v2, v2, v2
	v_max_f32_e32 v1, v1, v1
	s_cselect_b64 s[6:7], -1, 0
	v_max_f32_e32 v1, v1, v2
	s_or_b64 s[0:1], s[6:7], s[0:1]
	s_and_b64 vcc, exec, s[0:1]
	s_cbranch_vccnz .LBB4_19
	s_branch .LBB4_21
.LBB4_18:
	s_mov_b32 s5, 1
	s_cbranch_execz .LBB4_21
.LBB4_19:
	s_lshl_b32 s1, s5, 3
	s_sub_i32 s0, s19, s5
	s_add_i32 s1, s1, 0
.LBB4_20:                               ; =>This Inner Loop Header: Depth=1
	v_mov_b32_e32 v2, s1
	ds_read_b32 v2, v2
	s_waitcnt lgkmcnt(1)
	v_max_f32_e32 v1, v1, v1
	s_add_i32 s0, s0, -1
	s_add_i32 s1, s1, 8
	s_cmp_eq_u32 s0, 0
	s_waitcnt lgkmcnt(0)
	v_max_f32_e32 v2, v2, v2
	v_max_f32_e32 v1, v1, v2
	s_cbranch_scc0 .LBB4_20
.LBB4_21:
	s_cmp_lt_i32 s19, 1
	s_cbranch_scc1 .LBB4_26
; %bb.22:
	s_lshl_b32 s0, s2, 6
	s_ashr_i32 s1, s0, 31
	s_lshl_b64 s[0:1], s[0:1], 2
	s_add_u32 s16, s8, s0
	s_addc_u32 s17, s9, s1
	s_cmp_lt_u32 s19, 8
	s_cbranch_scc1 .LBB4_27
; %bb.23:
	v_mov_b32_e32 v7, 0
	s_and_b32 s20, s19, 0x7ffffff8
	v_or_b32_e32 v4, 0x1c0, v0
	s_mov_b32 s21, 0
	s_mov_b32 s22, 0x3fb8aa3b
	;; [unrolled: 1-line block ×4, first 2 shown]
	v_mov_b32_e32 v8, 0x7f800000
	s_mov_b32 s25, 0
	v_mov_b32_e32 v2, v7
	v_mov_b32_e32 v3, v7
.LBB4_24:                               ; =>This Inner Loop Header: Depth=1
	v_add_u32_e32 v6, 0xfffffe40, v4
	v_lshl_add_u64 v[26:27], v[6:7], 2, s[16:17]
	v_add_u32_e32 v6, 0xfffffe80, v4
	v_mov_b32_e32 v9, s21
	v_lshl_add_u64 v[30:31], v[6:7], 2, s[16:17]
	v_add_u32_e32 v6, 0xfffffec0, v4
	ds_read2_b64 v[10:13], v9 offset1:1
	ds_read2_b64 v[14:17], v9 offset0:2 offset1:3
	ds_read2_b64 v[18:21], v9 offset0:4 offset1:5
	;; [unrolled: 1-line block ×3, first 2 shown]
	global_load_dword v33, v[26:27], off
	global_load_dword v35, v[30:31], off
	v_lshl_add_u64 v[26:27], v[6:7], 2, s[16:17]
	v_add_u32_e32 v6, 0xffffff00, v4
	v_lshl_add_u64 v[30:31], v[6:7], 2, s[16:17]
	v_add_u32_e32 v6, 0xffffff40, v4
	global_load_dword v37, v[26:27], off
	global_load_dword v39, v[30:31], off
	v_lshl_add_u64 v[26:27], v[6:7], 2, s[16:17]
	v_add_u32_e32 v6, 0xffffff80, v4
	s_waitcnt lgkmcnt(3)
	v_mov_b32_e32 v32, v11
	v_sub_f32_e32 v9, v12, v1
	v_mov_b32_e32 v34, v13
	global_load_dword v11, v[26:27], off
	v_lshl_add_u64 v[12:13], v[6:7], 2, s[16:17]
	s_waitcnt lgkmcnt(2)
	v_mov_b32_e32 v36, v15
	v_subrev_u32_e32 v6, 64, v4
	global_load_dword v15, v[12:13], off
	v_mov_b32_e32 v5, v7
	v_lshl_add_u64 v[12:13], v[6:7], 2, s[16:17]
	v_lshl_add_u64 v[28:29], v[4:5], 2, s[16:17]
	v_sub_f32_e32 v5, v10, v1
	v_mov_b32_e32 v38, v17
	s_waitcnt lgkmcnt(1)
	v_mov_b32_e32 v10, v19
	global_load_dword v17, v[12:13], off
	global_load_dword v19, v[28:29], off
	v_sub_f32_e32 v30, v14, v1
	v_sub_f32_e32 v31, v16, v1
	;; [unrolled: 1-line block ×3, first 2 shown]
	v_mov_b32_e32 v14, v21
	s_waitcnt lgkmcnt(0)
	v_sub_f32_e32 v21, v22, v1
	v_mov_b32_e32 v16, v23
	v_sub_f32_e32 v22, v24, v1
	v_mul_f32_e32 v23, 0x3fb8aa3b, v5
	v_mov_b32_e32 v18, v25
	v_mul_f32_e32 v24, 0x3fb8aa3b, v9
	v_mul_f32_e32 v25, 0x3fb8aa3b, v30
	;; [unrolled: 1-line block ×5, first 2 shown]
	v_fma_f32 v43, v5, s22, -v23
	v_rndne_f32_e32 v44, v23
	v_sub_f32_e32 v20, v20, v1
	v_fma_f32 v45, v9, s22, -v24
	v_rndne_f32_e32 v46, v24
	v_fma_f32 v47, v30, s22, -v25
	v_rndne_f32_e32 v48, v25
	;; [unrolled: 2-line block ×5, first 2 shown]
	v_fmac_f32_e32 v43, 0x32a5705f, v5
	v_sub_f32_e32 v12, v23, v44
	v_mul_f32_e32 v26, 0x3fb8aa3b, v31
	v_mul_f32_e32 v41, 0x3fb8aa3b, v20
	v_fmac_f32_e32 v45, 0x32a5705f, v9
	v_sub_f32_e32 v23, v24, v46
	v_fmac_f32_e32 v47, 0x32a5705f, v30
	v_sub_f32_e32 v25, v25, v48
	;; [unrolled: 2-line block ×5, first 2 shown]
	v_add_f32_e32 v12, v12, v43
	v_fma_f32 v49, v31, s22, -v26
	v_rndne_f32_e32 v50, v26
	v_fma_f32 v53, v20, s22, -v41
	v_rndne_f32_e32 v54, v41
	v_cvt_i32_f32_e32 v13, v44
	v_add_f32_e32 v23, v23, v45
	v_add_f32_e32 v25, v25, v47
	;; [unrolled: 1-line block ×5, first 2 shown]
	v_exp_f32_e32 v12, v12
	v_cvt_i32_f32_e32 v24, v46
	v_cvt_i32_f32_e32 v28, v48
	v_fmac_f32_e32 v49, 0x32a5705f, v31
	v_sub_f32_e32 v26, v26, v50
	v_cvt_i32_f32_e32 v29, v50
	v_cvt_i32_f32_e32 v44, v52
	v_fmac_f32_e32 v53, 0x32a5705f, v20
	v_sub_f32_e32 v41, v41, v54
	v_cvt_i32_f32_e32 v48, v56
	v_cvt_i32_f32_e32 v50, v58
	v_exp_f32_e32 v23, v23
	v_exp_f32_e32 v25, v25
	;; [unrolled: 1-line block ×5, first 2 shown]
	v_add_f32_e32 v26, v26, v49
	v_add_f32_e32 v41, v41, v53
	v_cvt_i32_f32_e32 v46, v54
	v_exp_f32_e32 v26, v26
	v_exp_f32_e32 v41, v41
	v_ldexp_f32 v12, v12, v13
	v_cmp_ngt_f32_e64 s[12:13], s23, v5
	v_ldexp_f32 v13, v23, v24
	v_cmp_ngt_f32_e32 vcc, s23, v9
	v_ldexp_f32 v23, v25, v28
	v_ldexp_f32 v25, v27, v44
	;; [unrolled: 1-line block ×3, first 2 shown]
	v_cmp_ngt_f32_e64 s[8:9], s23, v21
	v_ldexp_f32 v6, v6, v50
	v_cmp_ngt_f32_e64 s[10:11], s23, v22
	v_cndmask_b32_e64 v12, 0, v12, s[12:13]
	v_cmp_nlt_f32_e64 s[12:13], s24, v5
	v_cmp_ngt_f32_e64 s[0:1], s23, v30
	v_cndmask_b32_e32 v13, 0, v13, vcc
	v_cmp_nlt_f32_e32 vcc, s24, v9
	v_cndmask_b32_e64 v27, 0, v27, s[8:9]
	v_cmp_nlt_f32_e64 s[8:9], s24, v21
	v_cndmask_b32_e64 v21, 0, v6, s[10:11]
	v_cndmask_b32_e64 v6, v8, v12, s[12:13]
	v_ldexp_f32 v24, v26, v29
	v_cmp_ngt_f32_e64 s[2:3], s23, v31
	v_cmp_ngt_f32_e64 s[4:5], s23, v40
	v_ldexp_f32 v26, v41, v46
	v_cmp_ngt_f32_e64 s[6:7], s23, v20
	v_cndmask_b32_e64 v9, 0, v23, s[0:1]
	v_cmp_nlt_f32_e64 s[0:1], s24, v30
	v_cndmask_b32_e32 v12, v8, v13, vcc
	s_waitcnt vmcnt(7)
	v_pk_fma_f32 v[2:3], v[6:7], v[32:33], v[2:3] op_sel_hi:[0,1,1]
	v_cndmask_b32_e64 v23, 0, v24, s[2:3]
	v_cmp_nlt_f32_e64 s[2:3], s24, v31
	v_cndmask_b32_e64 v24, 0, v25, s[4:5]
	v_cndmask_b32_e64 v25, 0, v26, s[6:7]
	v_cmp_nlt_f32_e64 s[6:7], s24, v20
	v_cndmask_b32_e64 v20, v8, v9, s[0:1]
	s_waitcnt vmcnt(6)
	v_pk_fma_f32 v[2:3], v[12:13], v[34:35], v[2:3] op_sel_hi:[0,1,1]
	v_cmp_nlt_f32_e64 s[4:5], s24, v40
	v_cmp_nlt_f32_e64 s[10:11], s24, v22
	v_cndmask_b32_e64 v22, v8, v23, s[2:3]
	s_waitcnt vmcnt(5)
	v_pk_fma_f32 v[2:3], v[20:21], v[36:37], v[2:3] op_sel_hi:[0,1,1]
	v_cndmask_b32_e64 v24, v8, v24, s[4:5]
	s_waitcnt vmcnt(4)
	v_pk_fma_f32 v[2:3], v[22:23], v[38:39], v[2:3] op_sel_hi:[0,1,1]
	;; [unrolled: 3-line block ×4, first 2 shown]
	s_add_i32 s25, s25, 8
	s_add_i32 s21, s21, 64
	v_cndmask_b32_e64 v30, v8, v21, s[10:11]
	s_waitcnt vmcnt(1)
	v_pk_fma_f32 v[2:3], v[28:29], v[16:17], v[2:3] op_sel_hi:[0,1,1]
	s_cmp_eq_u32 s20, s25
	v_add_u32_e32 v4, 0x200, v4
	s_waitcnt vmcnt(0)
	v_pk_fma_f32 v[2:3], v[30:31], v[18:19], v[2:3] op_sel_hi:[0,1,1]
	s_cbranch_scc0 .LBB4_24
; %bb.25:
	s_and_b32 s0, s19, 7
	s_cmp_eq_u32 s0, 0
	s_cbranch_scc0 .LBB4_28
	s_branch .LBB4_30
.LBB4_26:
	s_waitcnt lgkmcnt(0)
	v_mov_b32_e32 v1, 0x7fc00000
	s_branch .LBB4_31
.LBB4_27:
	v_mov_b32_e32 v2, 0
	s_mov_b32 s20, 0
	v_mov_b32_e32 v3, v2
	s_and_b32 s0, s19, 7
	s_cmp_eq_u32 s0, 0
	s_cbranch_scc1 .LBB4_30
.LBB4_28:
	s_lshl_b32 s1, s20, 3
	v_lshl_or_b32 v4, s20, 6, v0
	s_add_i32 s1, s1, 0
	s_mov_b32 s2, 0x3fb8aa3b
	s_mov_b32 s3, 0xc2ce8ed0
	;; [unrolled: 1-line block ×3, first 2 shown]
	v_mov_b32_e32 v6, 0x7f800000
	v_mov_b32_e32 v5, 0
.LBB4_29:                               ; =>This Inner Loop Header: Depth=1
	v_lshl_add_u64 v[8:9], v[4:5], 2, s[16:17]
	global_load_dword v9, v[8:9], off
	v_mov_b32_e32 v7, s1
	ds_read_b64 v[10:11], v7
	s_add_i32 s1, s1, 8
	s_add_i32 s0, s0, -1
	v_add_u32_e32 v4, 64, v4
	s_cmp_lg_u32 s0, 0
	s_waitcnt lgkmcnt(0)
	v_sub_f32_e32 v7, v10, v1
	v_mul_f32_e32 v8, 0x3fb8aa3b, v7
	v_fma_f32 v10, v7, s2, -v8
	v_rndne_f32_e32 v12, v8
	v_fmac_f32_e32 v10, 0x32a5705f, v7
	v_sub_f32_e32 v8, v8, v12
	v_add_f32_e32 v8, v8, v10
	v_cvt_i32_f32_e32 v12, v12
	v_exp_f32_e32 v10, v8
	v_cmp_ngt_f32_e32 vcc, s3, v7
	v_mov_b32_e32 v8, v11
	v_ldexp_f32 v10, v10, v12
	v_cndmask_b32_e32 v10, 0, v10, vcc
	v_cmp_nlt_f32_e32 vcc, s4, v7
	s_nop 1
	v_cndmask_b32_e32 v10, v6, v10, vcc
	s_waitcnt vmcnt(0)
	v_pk_fma_f32 v[2:3], v[10:11], v[8:9], v[2:3] op_sel_hi:[0,1,1]
	s_cbranch_scc1 .LBB4_29
.LBB4_30:
	s_waitcnt lgkmcnt(0)
	v_div_scale_f32 v1, s[0:1], v2, v2, v3
	v_rcp_f32_e32 v4, v1
	v_div_scale_f32 v5, vcc, v3, v2, v3
	v_fma_f32 v6, -v1, v4, 1.0
	v_fmac_f32_e32 v4, v6, v4
	v_mul_f32_e32 v6, v5, v4
	v_fma_f32 v7, -v1, v6, v5
	v_fmac_f32_e32 v6, v7, v4
	v_fma_f32 v1, -v1, v6, v5
	v_div_fmas_f32 v1, v1, v4, v6
	v_div_fixup_f32 v1, v1, v2, v3
.LBB4_31:
	s_lshl_b32 s0, s18, 6
	s_ashr_i32 s1, s0, 31
	s_lshl_b64 s[0:1], s[0:1], 2
	s_add_u32 s0, s14, s0
	s_addc_u32 s1, s15, s1
	v_lshlrev_b32_e32 v0, 2, v0
	global_store_dword v0, v1, s[0:1]
	s_endpgm
	.section	.rodata,"a",@progbits
	.p2align	6, 0x0
	.amdhsa_kernel _ZL26flash_attn_combine_resultsILi64EEvPKfPK15HIP_vector_typeIfLj2EEPfi
		.amdhsa_group_segment_fixed_size 0
		.amdhsa_private_segment_fixed_size 0
		.amdhsa_kernarg_size 288
		.amdhsa_user_sgpr_count 2
		.amdhsa_user_sgpr_dispatch_ptr 0
		.amdhsa_user_sgpr_queue_ptr 0
		.amdhsa_user_sgpr_kernarg_segment_ptr 1
		.amdhsa_user_sgpr_dispatch_id 0
		.amdhsa_user_sgpr_kernarg_preload_length 0
		.amdhsa_user_sgpr_kernarg_preload_offset 0
		.amdhsa_user_sgpr_private_segment_size 0
		.amdhsa_uses_dynamic_stack 0
		.amdhsa_enable_private_segment 0
		.amdhsa_system_sgpr_workgroup_id_x 1
		.amdhsa_system_sgpr_workgroup_id_y 1
		.amdhsa_system_sgpr_workgroup_id_z 1
		.amdhsa_system_sgpr_workgroup_info 0
		.amdhsa_system_vgpr_workitem_id 0
		.amdhsa_next_free_vgpr 59
		.amdhsa_next_free_sgpr 26
		.amdhsa_accum_offset 60
		.amdhsa_reserve_vcc 1
		.amdhsa_float_round_mode_32 0
		.amdhsa_float_round_mode_16_64 0
		.amdhsa_float_denorm_mode_32 3
		.amdhsa_float_denorm_mode_16_64 3
		.amdhsa_dx10_clamp 1
		.amdhsa_ieee_mode 1
		.amdhsa_fp16_overflow 0
		.amdhsa_tg_split 0
		.amdhsa_exception_fp_ieee_invalid_op 0
		.amdhsa_exception_fp_denorm_src 0
		.amdhsa_exception_fp_ieee_div_zero 0
		.amdhsa_exception_fp_ieee_overflow 0
		.amdhsa_exception_fp_ieee_underflow 0
		.amdhsa_exception_fp_ieee_inexact 0
		.amdhsa_exception_int_div_zero 0
	.end_amdhsa_kernel
	.section	.text._ZL26flash_attn_combine_resultsILi64EEvPKfPK15HIP_vector_typeIfLj2EEPfi,"axG",@progbits,_ZL26flash_attn_combine_resultsILi64EEvPKfPK15HIP_vector_typeIfLj2EEPfi,comdat
.Lfunc_end4:
	.size	_ZL26flash_attn_combine_resultsILi64EEvPKfPK15HIP_vector_typeIfLj2EEPfi, .Lfunc_end4-_ZL26flash_attn_combine_resultsILi64EEvPKfPK15HIP_vector_typeIfLj2EEPfi
                                        ; -- End function
	.set _ZL26flash_attn_combine_resultsILi64EEvPKfPK15HIP_vector_typeIfLj2EEPfi.num_vgpr, 59
	.set _ZL26flash_attn_combine_resultsILi64EEvPKfPK15HIP_vector_typeIfLj2EEPfi.num_agpr, 0
	.set _ZL26flash_attn_combine_resultsILi64EEvPKfPK15HIP_vector_typeIfLj2EEPfi.numbered_sgpr, 26
	.set _ZL26flash_attn_combine_resultsILi64EEvPKfPK15HIP_vector_typeIfLj2EEPfi.num_named_barrier, 0
	.set _ZL26flash_attn_combine_resultsILi64EEvPKfPK15HIP_vector_typeIfLj2EEPfi.private_seg_size, 0
	.set _ZL26flash_attn_combine_resultsILi64EEvPKfPK15HIP_vector_typeIfLj2EEPfi.uses_vcc, 1
	.set _ZL26flash_attn_combine_resultsILi64EEvPKfPK15HIP_vector_typeIfLj2EEPfi.uses_flat_scratch, 0
	.set _ZL26flash_attn_combine_resultsILi64EEvPKfPK15HIP_vector_typeIfLj2EEPfi.has_dyn_sized_stack, 0
	.set _ZL26flash_attn_combine_resultsILi64EEvPKfPK15HIP_vector_typeIfLj2EEPfi.has_recursion, 0
	.set _ZL26flash_attn_combine_resultsILi64EEvPKfPK15HIP_vector_typeIfLj2EEPfi.has_indirect_call, 0
	.section	.AMDGPU.csdata,"",@progbits
; Kernel info:
; codeLenInByte = 2900
; TotalNumSgprs: 32
; NumVgprs: 59
; NumAgprs: 0
; TotalNumVgprs: 59
; ScratchSize: 0
; MemoryBound: 0
; FloatMode: 240
; IeeeMode: 1
; LDSByteSize: 0 bytes/workgroup (compile time only)
; SGPRBlocks: 3
; VGPRBlocks: 7
; NumSGPRsForWavesPerEU: 32
; NumVGPRsForWavesPerEU: 59
; AccumOffset: 60
; Occupancy: 8
; WaveLimiterHint : 0
; COMPUTE_PGM_RSRC2:SCRATCH_EN: 0
; COMPUTE_PGM_RSRC2:USER_SGPR: 2
; COMPUTE_PGM_RSRC2:TRAP_HANDLER: 0
; COMPUTE_PGM_RSRC2:TGID_X_EN: 1
; COMPUTE_PGM_RSRC2:TGID_Y_EN: 1
; COMPUTE_PGM_RSRC2:TGID_Z_EN: 1
; COMPUTE_PGM_RSRC2:TIDIG_COMP_CNT: 0
; COMPUTE_PGM_RSRC3_GFX90A:ACCUM_OFFSET: 14
; COMPUTE_PGM_RSRC3_GFX90A:TG_SPLIT: 0
	.text
	.p2align	2                               ; -- Begin function __ockl_printf_append_string_n
	.type	__ockl_printf_append_string_n,@function
__ockl_printf_append_string_n:          ; @__ockl_printf_append_string_n
; %bb.0:
	s_waitcnt vmcnt(0) expcnt(0) lgkmcnt(0)
	s_getpc_b64 s[0:1]
	s_add_u32 s0, s0, __FUNCTION__._ZL18flash_attn_ext_vecILi64ELi1EL9ggml_type7ELS0_7ELb1EEvPKcS2_S2_S2_S2_PKiPfP15HIP_vector_typeIfLj2EEffffjfiS6_IjLj3EEiiiiiiiiiiiliiliiiiil@rel32@lo+4
	s_addc_u32 s1, s1, __FUNCTION__._ZL18flash_attn_ext_vecILi64ELi1EL9ggml_type7ELS0_7ELb1EEvPKcS2_S2_S2_S2_PKiPfP15HIP_vector_typeIfLj2EEffffjfiS6_IjLj3EEiiiiiiiiiiiliiliiiiil@rel32@hi+12
	v_mov_b32_e32 v2, v0
	s_mov_b64 s[2:3], 0
	s_cmp_lg_u64 s[0:1], 0
	v_mbcnt_lo_u32_b32 v3, -1, 0
	s_cbranch_scc0 .LBB5_87
; %bb.1:
	s_load_dwordx2 s[4:5], s[8:9], 0x50
	v_and_b32_e32 v0, -3, v2
	s_getpc_b64 s[0:1]
	s_add_u32 s0, s0, __FUNCTION__._ZL18flash_attn_ext_vecILi64ELi1EL9ggml_type7ELS0_7ELb1EEvPKcS2_S2_S2_S2_PKiPfP15HIP_vector_typeIfLj2EEffffjfiS6_IjLj3EEiiiiiiiiiiiliiliiiiil@rel32@lo+4
	s_addc_u32 s1, s1, __FUNCTION__._ZL18flash_attn_ext_vecILi64ELi1EL9ggml_type7ELS0_7ELb1EEvPKcS2_S2_S2_S2_PKiPfP15HIP_vector_typeIfLj2EEffffjfiS6_IjLj3EEiiiiiiiiiiiliiliiiiil@rel32@hi+12
	v_and_b32_e32 v26, 2, v2
	s_mov_b32 s16, 0
	v_mov_b32_e32 v29, 0
	v_mbcnt_hi_u32_b32 v30, -1, v3
	v_mov_b64_e32 v[32:33], s[0:1]
	s_movk_i32 s17, 0x1e0
	v_mov_b32_e32 v50, 2
	v_mov_b32_e32 v51, 1
	v_mov_b64_e32 v[6:7], v[0:1]
	s_branch .LBB5_3
.LBB5_2:                                ;   in Loop: Header=BB5_3 Depth=1
	s_or_b64 exec, exec, s[10:11]
	v_sub_co_u32_e32 v4, vcc, v4, v34
	v_lshl_add_u64 v[32:33], v[32:33], 0, v[34:35]
	s_nop 0
	v_subb_co_u32_e32 v5, vcc, v5, v35, vcc
	v_cmp_eq_u64_e32 vcc, 0, v[4:5]
	s_or_b64 s[2:3], vcc, s[2:3]
	s_andn2_b64 exec, exec, s[2:3]
	s_cbranch_execz .LBB5_85
.LBB5_3:                                ; =>This Loop Header: Depth=1
                                        ;     Child Loop BB5_6 Depth 2
                                        ;     Child Loop BB5_14 Depth 2
	;; [unrolled: 1-line block ×11, first 2 shown]
	v_cmp_gt_u64_e32 vcc, 56, v[4:5]
	v_lshl_add_u64 v[12:13], v[32:33], 0, 8
	s_nop 0
	v_cndmask_b32_e32 v35, 0, v5, vcc
	v_cndmask_b32_e32 v34, 56, v4, vcc
	v_cmp_gt_u64_e32 vcc, 8, v[4:5]
	s_and_saveexec_b64 s[0:1], vcc
	s_xor_b64 s[0:1], exec, s[0:1]
	s_cbranch_execz .LBB5_9
; %bb.4:                                ;   in Loop: Header=BB5_3 Depth=1
	v_mov_b64_e32 v[8:9], 0
	v_cmp_ne_u64_e32 vcc, 0, v[4:5]
	s_and_saveexec_b64 s[6:7], vcc
	s_cbranch_execz .LBB5_8
; %bb.5:                                ;   in Loop: Header=BB5_3 Depth=1
	v_lshlrev_b64 v[10:11], 3, v[34:35]
	s_mov_b64 s[10:11], 0
	v_mov_b64_e32 v[8:9], 0
	v_mov_b64_e32 v[12:13], v[32:33]
	s_mov_b64 s[12:13], 0
.LBB5_6:                                ;   Parent Loop BB5_3 Depth=1
                                        ; =>  This Inner Loop Header: Depth=2
	global_load_ubyte v0, v[12:13], off
	v_mov_b32_e32 v15, s16
	v_lshl_add_u64 v[12:13], v[12:13], 0, 1
	s_waitcnt vmcnt(0)
	v_and_b32_e32 v14, 0xffff, v0
	v_lshlrev_b64 v[14:15], s12, v[14:15]
	s_add_u32 s12, s12, 8
	s_addc_u32 s13, s13, 0
	v_cmp_eq_u32_e32 vcc, s12, v10
	v_or_b32_e32 v9, v15, v9
	s_or_b64 s[10:11], vcc, s[10:11]
	v_or_b32_e32 v8, v14, v8
	s_andn2_b64 exec, exec, s[10:11]
	s_cbranch_execnz .LBB5_6
; %bb.7:                                ;   in Loop: Header=BB5_3 Depth=1
	s_or_b64 exec, exec, s[10:11]
.LBB5_8:                                ;   in Loop: Header=BB5_3 Depth=1
	s_or_b64 exec, exec, s[6:7]
	v_mov_b64_e32 v[12:13], v[32:33]
.LBB5_9:                                ;   in Loop: Header=BB5_3 Depth=1
	s_or_saveexec_b64 s[0:1], s[0:1]
	v_mov_b32_e32 v0, 0
	s_xor_b64 exec, exec, s[0:1]
	s_cbranch_execz .LBB5_11
; %bb.10:                               ;   in Loop: Header=BB5_3 Depth=1
	global_load_dwordx2 v[8:9], v[32:33], off
	v_add_u32_e32 v0, -8, v34
.LBB5_11:                               ;   in Loop: Header=BB5_3 Depth=1
	s_or_b64 exec, exec, s[0:1]
	v_cmp_gt_u32_e32 vcc, 8, v0
	v_lshl_add_u64 v[14:15], v[12:13], 0, 8
                                        ; implicit-def: $vgpr10_vgpr11
	s_and_saveexec_b64 s[0:1], vcc
	s_xor_b64 s[0:1], exec, s[0:1]
	s_cbranch_execz .LBB5_17
; %bb.12:                               ;   in Loop: Header=BB5_3 Depth=1
	v_cmp_ne_u32_e32 vcc, 0, v0
	v_mov_b64_e32 v[10:11], 0
	s_and_saveexec_b64 s[6:7], vcc
	s_cbranch_execz .LBB5_16
; %bb.13:                               ;   in Loop: Header=BB5_3 Depth=1
	s_mov_b64 s[10:11], 0
	v_mov_b64_e32 v[10:11], 0
	s_mov_b64 s[12:13], 0
	s_mov_b64 s[14:15], 0
.LBB5_14:                               ;   Parent Loop BB5_3 Depth=1
                                        ; =>  This Inner Loop Header: Depth=2
	v_lshl_add_u64 v[14:15], v[12:13], 0, s[14:15]
	global_load_ubyte v14, v[14:15], off
	s_add_u32 s14, s14, 1
	v_mov_b32_e32 v15, s16
	s_addc_u32 s15, s15, 0
	v_cmp_eq_u32_e32 vcc, s14, v0
	s_waitcnt vmcnt(0)
	v_and_b32_e32 v14, 0xffff, v14
	v_lshlrev_b64 v[14:15], s12, v[14:15]
	s_add_u32 s12, s12, 8
	s_addc_u32 s13, s13, 0
	v_or_b32_e32 v11, v15, v11
	s_or_b64 s[10:11], vcc, s[10:11]
	v_or_b32_e32 v10, v14, v10
	s_andn2_b64 exec, exec, s[10:11]
	s_cbranch_execnz .LBB5_14
; %bb.15:                               ;   in Loop: Header=BB5_3 Depth=1
	s_or_b64 exec, exec, s[10:11]
.LBB5_16:                               ;   in Loop: Header=BB5_3 Depth=1
	s_or_b64 exec, exec, s[6:7]
	v_mov_b64_e32 v[14:15], v[12:13]
                                        ; implicit-def: $vgpr0
.LBB5_17:                               ;   in Loop: Header=BB5_3 Depth=1
	s_or_saveexec_b64 s[0:1], s[0:1]
	v_mov_b32_e32 v18, 0
	s_xor_b64 exec, exec, s[0:1]
	s_cbranch_execz .LBB5_19
; %bb.18:                               ;   in Loop: Header=BB5_3 Depth=1
	global_load_dwordx2 v[10:11], v[12:13], off
	v_add_u32_e32 v18, -8, v0
.LBB5_19:                               ;   in Loop: Header=BB5_3 Depth=1
	s_or_b64 exec, exec, s[0:1]
	v_cmp_gt_u32_e32 vcc, 8, v18
	v_lshl_add_u64 v[16:17], v[14:15], 0, 8
	s_and_saveexec_b64 s[0:1], vcc
	s_xor_b64 s[0:1], exec, s[0:1]
	s_cbranch_execz .LBB5_25
; %bb.20:                               ;   in Loop: Header=BB5_3 Depth=1
	v_cmp_ne_u32_e32 vcc, 0, v18
	v_mov_b64_e32 v[12:13], 0
	s_and_saveexec_b64 s[6:7], vcc
	s_cbranch_execz .LBB5_24
; %bb.21:                               ;   in Loop: Header=BB5_3 Depth=1
	s_mov_b64 s[10:11], 0
	v_mov_b64_e32 v[12:13], 0
	s_mov_b64 s[12:13], 0
	s_mov_b64 s[14:15], 0
.LBB5_22:                               ;   Parent Loop BB5_3 Depth=1
                                        ; =>  This Inner Loop Header: Depth=2
	v_lshl_add_u64 v[16:17], v[14:15], 0, s[14:15]
	global_load_ubyte v0, v[16:17], off
	s_add_u32 s14, s14, 1
	v_mov_b32_e32 v17, s16
	s_addc_u32 s15, s15, 0
	v_cmp_eq_u32_e32 vcc, s14, v18
	s_waitcnt vmcnt(0)
	v_and_b32_e32 v16, 0xffff, v0
	v_lshlrev_b64 v[16:17], s12, v[16:17]
	s_add_u32 s12, s12, 8
	s_addc_u32 s13, s13, 0
	v_or_b32_e32 v13, v17, v13
	s_or_b64 s[10:11], vcc, s[10:11]
	v_or_b32_e32 v12, v16, v12
	s_andn2_b64 exec, exec, s[10:11]
	s_cbranch_execnz .LBB5_22
; %bb.23:                               ;   in Loop: Header=BB5_3 Depth=1
	s_or_b64 exec, exec, s[10:11]
.LBB5_24:                               ;   in Loop: Header=BB5_3 Depth=1
	s_or_b64 exec, exec, s[6:7]
	v_mov_b64_e32 v[16:17], v[14:15]
                                        ; implicit-def: $vgpr18
.LBB5_25:                               ;   in Loop: Header=BB5_3 Depth=1
	s_or_saveexec_b64 s[0:1], s[0:1]
	v_mov_b32_e32 v0, 0
	s_xor_b64 exec, exec, s[0:1]
	s_cbranch_execz .LBB5_27
; %bb.26:                               ;   in Loop: Header=BB5_3 Depth=1
	global_load_dwordx2 v[12:13], v[14:15], off
	v_add_u32_e32 v0, -8, v18
.LBB5_27:                               ;   in Loop: Header=BB5_3 Depth=1
	s_or_b64 exec, exec, s[0:1]
	v_cmp_gt_u32_e32 vcc, 8, v0
	v_lshl_add_u64 v[18:19], v[16:17], 0, 8
                                        ; implicit-def: $vgpr14_vgpr15
	s_and_saveexec_b64 s[0:1], vcc
	s_xor_b64 s[0:1], exec, s[0:1]
	s_cbranch_execz .LBB5_33
; %bb.28:                               ;   in Loop: Header=BB5_3 Depth=1
	v_cmp_ne_u32_e32 vcc, 0, v0
	v_mov_b64_e32 v[14:15], 0
	s_and_saveexec_b64 s[6:7], vcc
	s_cbranch_execz .LBB5_32
; %bb.29:                               ;   in Loop: Header=BB5_3 Depth=1
	s_mov_b64 s[10:11], 0
	v_mov_b64_e32 v[14:15], 0
	s_mov_b64 s[12:13], 0
	s_mov_b64 s[14:15], 0
.LBB5_30:                               ;   Parent Loop BB5_3 Depth=1
                                        ; =>  This Inner Loop Header: Depth=2
	v_lshl_add_u64 v[18:19], v[16:17], 0, s[14:15]
	global_load_ubyte v18, v[18:19], off
	s_add_u32 s14, s14, 1
	v_mov_b32_e32 v19, s16
	s_addc_u32 s15, s15, 0
	v_cmp_eq_u32_e32 vcc, s14, v0
	s_waitcnt vmcnt(0)
	v_and_b32_e32 v18, 0xffff, v18
	v_lshlrev_b64 v[18:19], s12, v[18:19]
	s_add_u32 s12, s12, 8
	s_addc_u32 s13, s13, 0
	v_or_b32_e32 v15, v19, v15
	s_or_b64 s[10:11], vcc, s[10:11]
	v_or_b32_e32 v14, v18, v14
	s_andn2_b64 exec, exec, s[10:11]
	s_cbranch_execnz .LBB5_30
; %bb.31:                               ;   in Loop: Header=BB5_3 Depth=1
	s_or_b64 exec, exec, s[10:11]
.LBB5_32:                               ;   in Loop: Header=BB5_3 Depth=1
	s_or_b64 exec, exec, s[6:7]
	v_mov_b64_e32 v[18:19], v[16:17]
                                        ; implicit-def: $vgpr0
.LBB5_33:                               ;   in Loop: Header=BB5_3 Depth=1
	s_or_saveexec_b64 s[0:1], s[0:1]
	v_mov_b32_e32 v22, 0
	s_xor_b64 exec, exec, s[0:1]
	s_cbranch_execz .LBB5_35
; %bb.34:                               ;   in Loop: Header=BB5_3 Depth=1
	global_load_dwordx2 v[14:15], v[16:17], off
	v_add_u32_e32 v22, -8, v0
.LBB5_35:                               ;   in Loop: Header=BB5_3 Depth=1
	s_or_b64 exec, exec, s[0:1]
	v_cmp_gt_u32_e32 vcc, 8, v22
	v_lshl_add_u64 v[20:21], v[18:19], 0, 8
	s_and_saveexec_b64 s[0:1], vcc
	s_xor_b64 s[0:1], exec, s[0:1]
	s_cbranch_execz .LBB5_41
; %bb.36:                               ;   in Loop: Header=BB5_3 Depth=1
	v_cmp_ne_u32_e32 vcc, 0, v22
	v_mov_b64_e32 v[16:17], 0
	s_and_saveexec_b64 s[6:7], vcc
	s_cbranch_execz .LBB5_40
; %bb.37:                               ;   in Loop: Header=BB5_3 Depth=1
	s_mov_b64 s[10:11], 0
	v_mov_b64_e32 v[16:17], 0
	s_mov_b64 s[12:13], 0
	s_mov_b64 s[14:15], 0
.LBB5_38:                               ;   Parent Loop BB5_3 Depth=1
                                        ; =>  This Inner Loop Header: Depth=2
	v_lshl_add_u64 v[20:21], v[18:19], 0, s[14:15]
	global_load_ubyte v0, v[20:21], off
	s_add_u32 s14, s14, 1
	v_mov_b32_e32 v21, s16
	s_addc_u32 s15, s15, 0
	v_cmp_eq_u32_e32 vcc, s14, v22
	s_waitcnt vmcnt(0)
	v_and_b32_e32 v20, 0xffff, v0
	v_lshlrev_b64 v[20:21], s12, v[20:21]
	s_add_u32 s12, s12, 8
	s_addc_u32 s13, s13, 0
	v_or_b32_e32 v17, v21, v17
	s_or_b64 s[10:11], vcc, s[10:11]
	v_or_b32_e32 v16, v20, v16
	s_andn2_b64 exec, exec, s[10:11]
	s_cbranch_execnz .LBB5_38
; %bb.39:                               ;   in Loop: Header=BB5_3 Depth=1
	s_or_b64 exec, exec, s[10:11]
.LBB5_40:                               ;   in Loop: Header=BB5_3 Depth=1
	s_or_b64 exec, exec, s[6:7]
	v_mov_b64_e32 v[20:21], v[18:19]
                                        ; implicit-def: $vgpr22
.LBB5_41:                               ;   in Loop: Header=BB5_3 Depth=1
	s_or_saveexec_b64 s[0:1], s[0:1]
	v_mov_b32_e32 v0, 0
	s_xor_b64 exec, exec, s[0:1]
	s_cbranch_execz .LBB5_43
; %bb.42:                               ;   in Loop: Header=BB5_3 Depth=1
	global_load_dwordx2 v[16:17], v[18:19], off
	v_add_u32_e32 v0, -8, v22
.LBB5_43:                               ;   in Loop: Header=BB5_3 Depth=1
	s_or_b64 exec, exec, s[0:1]
	v_cmp_gt_u32_e32 vcc, 8, v0
	v_lshl_add_u64 v[22:23], v[20:21], 0, 8
                                        ; implicit-def: $vgpr18_vgpr19
	s_and_saveexec_b64 s[0:1], vcc
	s_xor_b64 s[0:1], exec, s[0:1]
	s_cbranch_execz .LBB5_49
; %bb.44:                               ;   in Loop: Header=BB5_3 Depth=1
	v_cmp_ne_u32_e32 vcc, 0, v0
	v_mov_b64_e32 v[18:19], 0
	s_and_saveexec_b64 s[6:7], vcc
	s_cbranch_execz .LBB5_48
; %bb.45:                               ;   in Loop: Header=BB5_3 Depth=1
	s_mov_b64 s[10:11], 0
	v_mov_b64_e32 v[18:19], 0
	s_mov_b64 s[12:13], 0
	s_mov_b64 s[14:15], 0
.LBB5_46:                               ;   Parent Loop BB5_3 Depth=1
                                        ; =>  This Inner Loop Header: Depth=2
	v_lshl_add_u64 v[22:23], v[20:21], 0, s[14:15]
	global_load_ubyte v22, v[22:23], off
	s_add_u32 s14, s14, 1
	v_mov_b32_e32 v23, s16
	s_addc_u32 s15, s15, 0
	v_cmp_eq_u32_e32 vcc, s14, v0
	s_waitcnt vmcnt(0)
	v_and_b32_e32 v22, 0xffff, v22
	v_lshlrev_b64 v[22:23], s12, v[22:23]
	s_add_u32 s12, s12, 8
	s_addc_u32 s13, s13, 0
	v_or_b32_e32 v19, v23, v19
	s_or_b64 s[10:11], vcc, s[10:11]
	v_or_b32_e32 v18, v22, v18
	s_andn2_b64 exec, exec, s[10:11]
	s_cbranch_execnz .LBB5_46
; %bb.47:                               ;   in Loop: Header=BB5_3 Depth=1
	s_or_b64 exec, exec, s[10:11]
.LBB5_48:                               ;   in Loop: Header=BB5_3 Depth=1
	s_or_b64 exec, exec, s[6:7]
	v_mov_b64_e32 v[22:23], v[20:21]
                                        ; implicit-def: $vgpr0
.LBB5_49:                               ;   in Loop: Header=BB5_3 Depth=1
	s_or_saveexec_b64 s[0:1], s[0:1]
	v_mov_b32_e32 v24, 0
	s_xor_b64 exec, exec, s[0:1]
	s_cbranch_execz .LBB5_51
; %bb.50:                               ;   in Loop: Header=BB5_3 Depth=1
	global_load_dwordx2 v[18:19], v[20:21], off
	v_add_u32_e32 v24, -8, v0
.LBB5_51:                               ;   in Loop: Header=BB5_3 Depth=1
	s_or_b64 exec, exec, s[0:1]
	v_cmp_gt_u32_e32 vcc, 8, v24
	s_and_saveexec_b64 s[0:1], vcc
	s_xor_b64 s[0:1], exec, s[0:1]
	s_cbranch_execz .LBB5_57
; %bb.52:                               ;   in Loop: Header=BB5_3 Depth=1
	v_cmp_ne_u32_e32 vcc, 0, v24
	v_mov_b64_e32 v[20:21], 0
	s_and_saveexec_b64 s[6:7], vcc
	s_cbranch_execz .LBB5_56
; %bb.53:                               ;   in Loop: Header=BB5_3 Depth=1
	s_mov_b64 s[10:11], 0
	v_mov_b64_e32 v[20:21], 0
	s_mov_b64 s[12:13], 0
.LBB5_54:                               ;   Parent Loop BB5_3 Depth=1
                                        ; =>  This Inner Loop Header: Depth=2
	global_load_ubyte v0, v[22:23], off
	v_mov_b32_e32 v37, s16
	v_add_u32_e32 v24, -1, v24
	v_cmp_eq_u32_e32 vcc, 0, v24
	v_lshl_add_u64 v[22:23], v[22:23], 0, 1
	s_waitcnt vmcnt(0)
	v_and_b32_e32 v36, 0xffff, v0
	v_lshlrev_b64 v[36:37], s12, v[36:37]
	s_add_u32 s12, s12, 8
	s_addc_u32 s13, s13, 0
	v_or_b32_e32 v21, v37, v21
	s_or_b64 s[10:11], vcc, s[10:11]
	v_or_b32_e32 v20, v36, v20
	s_andn2_b64 exec, exec, s[10:11]
	s_cbranch_execnz .LBB5_54
; %bb.55:                               ;   in Loop: Header=BB5_3 Depth=1
	s_or_b64 exec, exec, s[10:11]
.LBB5_56:                               ;   in Loop: Header=BB5_3 Depth=1
	s_or_b64 exec, exec, s[6:7]
                                        ; implicit-def: $vgpr22_vgpr23
.LBB5_57:                               ;   in Loop: Header=BB5_3 Depth=1
	s_andn2_saveexec_b64 s[0:1], s[0:1]
	s_cbranch_execz .LBB5_59
; %bb.58:                               ;   in Loop: Header=BB5_3 Depth=1
	global_load_dwordx2 v[20:21], v[22:23], off
.LBB5_59:                               ;   in Loop: Header=BB5_3 Depth=1
	s_or_b64 exec, exec, s[0:1]
	v_readfirstlane_b32 s0, v30
	v_mov_b64_e32 v[36:37], 0
	s_nop 0
	v_cmp_eq_u32_e64 s[0:1], s0, v30
	s_and_saveexec_b64 s[6:7], s[0:1]
	s_cbranch_execz .LBB5_65
; %bb.60:                               ;   in Loop: Header=BB5_3 Depth=1
	s_waitcnt lgkmcnt(0)
	global_load_dwordx2 v[24:25], v29, s[4:5] offset:24 sc0 sc1
	s_waitcnt vmcnt(0)
	buffer_inv sc0 sc1
	global_load_dwordx2 v[22:23], v29, s[4:5] offset:40
	global_load_dwordx2 v[36:37], v29, s[4:5]
	s_waitcnt vmcnt(1)
	v_and_b32_e32 v0, v22, v24
	v_and_b32_e32 v22, v23, v25
	v_mul_lo_u32 v22, v22, 24
	v_mul_hi_u32 v23, v0, 24
	v_add_u32_e32 v23, v23, v22
	v_mul_lo_u32 v22, v0, 24
	s_waitcnt vmcnt(0)
	v_lshl_add_u64 v[22:23], v[36:37], 0, v[22:23]
	global_load_dwordx2 v[22:23], v[22:23], off sc0 sc1
	s_waitcnt vmcnt(0)
	global_atomic_cmpswap_x2 v[36:37], v29, v[22:25], s[4:5] offset:24 sc0 sc1
	s_waitcnt vmcnt(0)
	buffer_inv sc0 sc1
	v_cmp_ne_u64_e32 vcc, v[36:37], v[24:25]
	s_and_saveexec_b64 s[10:11], vcc
	s_cbranch_execz .LBB5_64
; %bb.61:                               ;   in Loop: Header=BB5_3 Depth=1
	s_mov_b64 s[12:13], 0
.LBB5_62:                               ;   Parent Loop BB5_3 Depth=1
                                        ; =>  This Inner Loop Header: Depth=2
	s_sleep 1
	global_load_dwordx2 v[22:23], v29, s[4:5] offset:40
	global_load_dwordx2 v[38:39], v29, s[4:5]
	v_mov_b64_e32 v[24:25], v[36:37]
	s_waitcnt vmcnt(1)
	v_and_b32_e32 v0, v22, v24
	v_and_b32_e32 v27, v23, v25
	s_waitcnt vmcnt(0)
	v_mad_u64_u32 v[22:23], s[14:15], v0, 24, v[38:39]
	v_mov_b32_e32 v0, v23
	v_mad_u64_u32 v[36:37], s[14:15], v27, 24, v[0:1]
	v_mov_b32_e32 v23, v36
	global_load_dwordx2 v[22:23], v[22:23], off sc0 sc1
	s_waitcnt vmcnt(0)
	global_atomic_cmpswap_x2 v[36:37], v29, v[22:25], s[4:5] offset:24 sc0 sc1
	s_waitcnt vmcnt(0)
	buffer_inv sc0 sc1
	v_cmp_eq_u64_e32 vcc, v[36:37], v[24:25]
	s_or_b64 s[12:13], vcc, s[12:13]
	s_andn2_b64 exec, exec, s[12:13]
	s_cbranch_execnz .LBB5_62
; %bb.63:                               ;   in Loop: Header=BB5_3 Depth=1
	s_or_b64 exec, exec, s[12:13]
.LBB5_64:                               ;   in Loop: Header=BB5_3 Depth=1
	s_or_b64 exec, exec, s[10:11]
.LBB5_65:                               ;   in Loop: Header=BB5_3 Depth=1
	s_or_b64 exec, exec, s[6:7]
	s_waitcnt lgkmcnt(0)
	global_load_dwordx2 v[38:39], v29, s[4:5] offset:40
	global_load_dwordx4 v[22:25], v29, s[4:5]
	v_readfirstlane_b32 s7, v37
	v_readfirstlane_b32 s6, v36
	s_mov_b64 s[10:11], exec
	s_waitcnt vmcnt(1)
	v_readfirstlane_b32 s12, v38
	v_readfirstlane_b32 s13, v39
	s_and_b64 s[12:13], s[12:13], s[6:7]
	s_mul_i32 s14, s13, 24
	s_mul_hi_u32 s15, s12, 24
	s_add_i32 s15, s15, s14
	s_mul_i32 s14, s12, 24
	s_waitcnt vmcnt(0)
	v_lshl_add_u64 v[36:37], v[22:23], 0, s[14:15]
	s_and_saveexec_b64 s[14:15], s[0:1]
	s_cbranch_execz .LBB5_67
; %bb.66:                               ;   in Loop: Header=BB5_3 Depth=1
	v_mov_b64_e32 v[48:49], s[10:11]
	global_store_dwordx4 v[36:37], v[48:51], off offset:8
.LBB5_67:                               ;   in Loop: Header=BB5_3 Depth=1
	s_or_b64 exec, exec, s[14:15]
	v_cmp_gt_u64_e32 vcc, 57, v[4:5]
	s_lshl_b64 s[10:11], s[12:13], 12
	v_and_b32_e32 v6, 0xffffff1f, v6
	v_cndmask_b32_e32 v0, 0, v26, vcc
	v_lshl_add_u64 v[24:25], v[24:25], 0, s[10:11]
	v_lshl_add_u32 v27, v34, 2, 28
	v_or_b32_e32 v0, v6, v0
	v_and_or_b32 v6, v27, s17, v0
	v_lshlrev_b32_e32 v28, 6, v30
	v_readfirstlane_b32 s10, v24
	v_readfirstlane_b32 s11, v25
	s_nop 4
	global_store_dwordx4 v28, v[6:9], s[10:11]
	global_store_dwordx4 v28, v[10:13], s[10:11] offset:16
	global_store_dwordx4 v28, v[14:17], s[10:11] offset:32
	;; [unrolled: 1-line block ×3, first 2 shown]
	s_and_saveexec_b64 s[10:11], s[0:1]
	s_cbranch_execz .LBB5_75
; %bb.68:                               ;   in Loop: Header=BB5_3 Depth=1
	global_load_dwordx2 v[14:15], v29, s[4:5] offset:32 sc0 sc1
	global_load_dwordx2 v[6:7], v29, s[4:5] offset:40
	v_mov_b32_e32 v12, s6
	v_mov_b32_e32 v13, s7
	s_waitcnt vmcnt(0)
	v_readfirstlane_b32 s12, v6
	v_readfirstlane_b32 s13, v7
	s_and_b64 s[12:13], s[12:13], s[6:7]
	s_mul_i32 s13, s13, 24
	s_mul_hi_u32 s14, s12, 24
	s_mul_i32 s12, s12, 24
	s_add_i32 s13, s14, s13
	v_lshl_add_u64 v[10:11], v[22:23], 0, s[12:13]
	global_store_dwordx2 v[10:11], v[14:15], off
	buffer_wbl2 sc0 sc1
	s_waitcnt vmcnt(0)
	global_atomic_cmpswap_x2 v[8:9], v29, v[12:15], s[4:5] offset:32 sc0 sc1
	s_waitcnt vmcnt(0)
	v_cmp_ne_u64_e32 vcc, v[8:9], v[14:15]
	s_and_saveexec_b64 s[12:13], vcc
	s_cbranch_execz .LBB5_71
; %bb.69:                               ;   in Loop: Header=BB5_3 Depth=1
	s_mov_b64 s[14:15], 0
.LBB5_70:                               ;   Parent Loop BB5_3 Depth=1
                                        ; =>  This Inner Loop Header: Depth=2
	s_sleep 1
	global_store_dwordx2 v[10:11], v[8:9], off
	v_mov_b32_e32 v6, s6
	v_mov_b32_e32 v7, s7
	buffer_wbl2 sc0 sc1
	s_waitcnt vmcnt(0)
	global_atomic_cmpswap_x2 v[6:7], v29, v[6:9], s[4:5] offset:32 sc0 sc1
	s_waitcnt vmcnt(0)
	v_cmp_eq_u64_e32 vcc, v[6:7], v[8:9]
	s_or_b64 s[14:15], vcc, s[14:15]
	v_mov_b64_e32 v[8:9], v[6:7]
	s_andn2_b64 exec, exec, s[14:15]
	s_cbranch_execnz .LBB5_70
.LBB5_71:                               ;   in Loop: Header=BB5_3 Depth=1
	s_or_b64 exec, exec, s[12:13]
	global_load_dwordx2 v[6:7], v29, s[4:5] offset:16
	s_mov_b64 s[14:15], exec
	v_mbcnt_lo_u32_b32 v0, s14, 0
	v_mbcnt_hi_u32_b32 v0, s15, v0
	v_cmp_eq_u32_e32 vcc, 0, v0
	s_and_saveexec_b64 s[12:13], vcc
	s_cbranch_execz .LBB5_73
; %bb.72:                               ;   in Loop: Header=BB5_3 Depth=1
	s_bcnt1_i32_b64 s14, s[14:15]
	v_mov_b32_e32 v8, s14
	v_mov_b32_e32 v9, v29
	buffer_wbl2 sc0 sc1
	s_waitcnt vmcnt(0)
	global_atomic_add_x2 v[6:7], v[8:9], off offset:8 sc1
.LBB5_73:                               ;   in Loop: Header=BB5_3 Depth=1
	s_or_b64 exec, exec, s[12:13]
	s_waitcnt vmcnt(0)
	global_load_dwordx2 v[8:9], v[6:7], off offset:16
	s_waitcnt vmcnt(0)
	v_cmp_eq_u64_e32 vcc, 0, v[8:9]
	s_cbranch_vccnz .LBB5_75
; %bb.74:                               ;   in Loop: Header=BB5_3 Depth=1
	global_load_dword v6, v[6:7], off offset:24
	v_mov_b32_e32 v7, v29
	s_waitcnt vmcnt(0)
	v_readfirstlane_b32 s12, v6
	s_and_b32 m0, s12, 0xffffff
	buffer_wbl2 sc0 sc1
	global_store_dwordx2 v[8:9], v[6:7], off sc0 sc1
	s_sendmsg sendmsg(MSG_INTERRUPT)
.LBB5_75:                               ;   in Loop: Header=BB5_3 Depth=1
	s_or_b64 exec, exec, s[10:11]
	v_lshl_add_u64 v[6:7], v[24:25], 0, v[28:29]
	s_branch .LBB5_79
.LBB5_76:                               ;   in Loop: Header=BB5_79 Depth=2
	s_or_b64 exec, exec, s[10:11]
	v_readfirstlane_b32 s10, v0
	s_cmp_eq_u32 s10, 0
	s_cbranch_scc1 .LBB5_78
; %bb.77:                               ;   in Loop: Header=BB5_79 Depth=2
	s_sleep 1
	s_cbranch_execnz .LBB5_79
	s_branch .LBB5_81
.LBB5_78:                               ;   in Loop: Header=BB5_3 Depth=1
	s_branch .LBB5_81
.LBB5_79:                               ;   Parent Loop BB5_3 Depth=1
                                        ; =>  This Inner Loop Header: Depth=2
	v_mov_b32_e32 v0, 1
	s_and_saveexec_b64 s[10:11], s[0:1]
	s_cbranch_execz .LBB5_76
; %bb.80:                               ;   in Loop: Header=BB5_79 Depth=2
	global_load_dword v0, v[36:37], off offset:20 sc0 sc1
	s_waitcnt vmcnt(0)
	buffer_inv sc0 sc1
	v_and_b32_e32 v0, 1, v0
	s_branch .LBB5_76
.LBB5_81:                               ;   in Loop: Header=BB5_3 Depth=1
	global_load_dwordx2 v[6:7], v[6:7], off
	s_and_saveexec_b64 s[10:11], s[0:1]
	s_cbranch_execz .LBB5_2
; %bb.82:                               ;   in Loop: Header=BB5_3 Depth=1
	global_load_dwordx2 v[8:9], v29, s[4:5] offset:40
	global_load_dwordx2 v[16:17], v29, s[4:5] offset:24 sc0 sc1
	global_load_dwordx2 v[10:11], v29, s[4:5]
	s_waitcnt vmcnt(2)
	v_readfirstlane_b32 s12, v8
	v_readfirstlane_b32 s13, v9
	s_add_u32 s14, s12, 1
	s_addc_u32 s15, s13, 0
	s_add_u32 s0, s14, s6
	s_addc_u32 s1, s15, s7
	s_cmp_eq_u64 s[0:1], 0
	s_cselect_b32 s1, s15, s1
	s_cselect_b32 s0, s14, s0
	s_and_b64 s[6:7], s[0:1], s[12:13]
	s_mul_i32 s7, s7, 24
	s_mul_hi_u32 s12, s6, 24
	s_mul_i32 s6, s6, 24
	s_add_i32 s7, s12, s7
	s_waitcnt vmcnt(0)
	v_lshl_add_u64 v[12:13], v[10:11], 0, s[6:7]
	v_mov_b32_e32 v14, s0
	global_store_dwordx2 v[12:13], v[16:17], off
	v_mov_b32_e32 v15, s1
	buffer_wbl2 sc0 sc1
	s_waitcnt vmcnt(0)
	global_atomic_cmpswap_x2 v[10:11], v29, v[14:17], s[4:5] offset:24 sc0 sc1
	s_waitcnt vmcnt(0)
	v_cmp_ne_u64_e32 vcc, v[10:11], v[16:17]
	s_and_b64 exec, exec, vcc
	s_cbranch_execz .LBB5_2
; %bb.83:                               ;   in Loop: Header=BB5_3 Depth=1
	s_mov_b64 s[6:7], 0
.LBB5_84:                               ;   Parent Loop BB5_3 Depth=1
                                        ; =>  This Inner Loop Header: Depth=2
	s_sleep 1
	global_store_dwordx2 v[12:13], v[10:11], off
	v_mov_b32_e32 v8, s0
	v_mov_b32_e32 v9, s1
	buffer_wbl2 sc0 sc1
	s_waitcnt vmcnt(0)
	global_atomic_cmpswap_x2 v[8:9], v29, v[8:11], s[4:5] offset:24 sc0 sc1
	s_waitcnt vmcnt(0)
	v_cmp_eq_u64_e32 vcc, v[8:9], v[10:11]
	s_or_b64 s[6:7], vcc, s[6:7]
	v_mov_b64_e32 v[10:11], v[8:9]
	s_andn2_b64 exec, exec, s[6:7]
	s_cbranch_execnz .LBB5_84
	s_branch .LBB5_2
.LBB5_85:
	s_or_b64 exec, exec, s[2:3]
.LBB5_86:
	s_waitcnt vmcnt(0)
	v_mov_b32_e32 v0, v6
	v_mov_b32_e32 v1, v7
	s_waitcnt lgkmcnt(0)
	s_setpc_b64 s[30:31]
.LBB5_87:
                                        ; implicit-def: $vgpr6_vgpr7
	s_cbranch_execz .LBB5_86
; %bb.88:
	s_load_dwordx2 s[2:3], s[8:9], 0x50
	v_mbcnt_hi_u32_b32 v3, -1, v3
	v_mov_b64_e32 v[8:9], 0
	v_readfirstlane_b32 s0, v3
	s_nop 1
	v_cmp_eq_u32_e64 s[0:1], s0, v3
	s_and_saveexec_b64 s[4:5], s[0:1]
	s_cbranch_execz .LBB5_94
; %bb.89:
	v_mov_b32_e32 v0, 0
	s_waitcnt lgkmcnt(0)
	global_load_dwordx2 v[6:7], v0, s[2:3] offset:24 sc0 sc1
	s_waitcnt vmcnt(0)
	buffer_inv sc0 sc1
	global_load_dwordx2 v[4:5], v0, s[2:3] offset:40
	global_load_dwordx2 v[8:9], v0, s[2:3]
	s_waitcnt vmcnt(1)
	v_and_b32_e32 v4, v4, v6
	v_and_b32_e32 v5, v5, v7
	v_mul_lo_u32 v5, v5, 24
	v_mul_hi_u32 v10, v4, 24
	v_add_u32_e32 v5, v10, v5
	v_mul_lo_u32 v4, v4, 24
	s_waitcnt vmcnt(0)
	v_lshl_add_u64 v[4:5], v[8:9], 0, v[4:5]
	global_load_dwordx2 v[4:5], v[4:5], off sc0 sc1
	s_waitcnt vmcnt(0)
	global_atomic_cmpswap_x2 v[8:9], v0, v[4:7], s[2:3] offset:24 sc0 sc1
	s_waitcnt vmcnt(0)
	buffer_inv sc0 sc1
	v_cmp_ne_u64_e32 vcc, v[8:9], v[6:7]
	s_and_saveexec_b64 s[6:7], vcc
	s_cbranch_execz .LBB5_93
; %bb.90:
	s_mov_b64 s[8:9], 0
.LBB5_91:                               ; =>This Inner Loop Header: Depth=1
	s_sleep 1
	global_load_dwordx2 v[4:5], v0, s[2:3] offset:40
	global_load_dwordx2 v[10:11], v0, s[2:3]
	v_mov_b64_e32 v[6:7], v[8:9]
	s_waitcnt vmcnt(1)
	v_and_b32_e32 v4, v4, v6
	v_and_b32_e32 v9, v5, v7
	s_waitcnt vmcnt(0)
	v_mad_u64_u32 v[4:5], s[10:11], v4, 24, v[10:11]
	v_mov_b32_e32 v8, v5
	v_mad_u64_u32 v[8:9], s[10:11], v9, 24, v[8:9]
	v_mov_b32_e32 v5, v8
	global_load_dwordx2 v[4:5], v[4:5], off sc0 sc1
	s_waitcnt vmcnt(0)
	global_atomic_cmpswap_x2 v[8:9], v0, v[4:7], s[2:3] offset:24 sc0 sc1
	s_waitcnt vmcnt(0)
	buffer_inv sc0 sc1
	v_cmp_eq_u64_e32 vcc, v[8:9], v[6:7]
	s_or_b64 s[8:9], vcc, s[8:9]
	s_andn2_b64 exec, exec, s[8:9]
	s_cbranch_execnz .LBB5_91
; %bb.92:
	s_or_b64 exec, exec, s[8:9]
.LBB5_93:
	s_or_b64 exec, exec, s[6:7]
.LBB5_94:
	s_or_b64 exec, exec, s[4:5]
	v_mov_b32_e32 v11, 0
	s_waitcnt lgkmcnt(0)
	global_load_dwordx2 v[12:13], v11, s[2:3] offset:40
	global_load_dwordx4 v[4:7], v11, s[2:3]
	v_readfirstlane_b32 s5, v9
	v_readfirstlane_b32 s4, v8
	s_mov_b64 s[6:7], exec
	s_waitcnt vmcnt(1)
	v_readfirstlane_b32 s8, v12
	v_readfirstlane_b32 s9, v13
	s_and_b64 s[8:9], s[8:9], s[4:5]
	s_mul_i32 s10, s9, 24
	s_mul_hi_u32 s11, s8, 24
	s_add_i32 s11, s11, s10
	s_mul_i32 s10, s8, 24
	s_waitcnt vmcnt(0)
	v_lshl_add_u64 v[8:9], v[4:5], 0, s[10:11]
	s_and_saveexec_b64 s[10:11], s[0:1]
	s_cbranch_execz .LBB5_96
; %bb.95:
	v_mov_b64_e32 v[12:13], s[6:7]
	v_mov_b32_e32 v14, 2
	v_mov_b32_e32 v15, 1
	global_store_dwordx4 v[8:9], v[12:15], off offset:8
.LBB5_96:
	s_or_b64 exec, exec, s[10:11]
	s_lshl_b64 s[6:7], s[8:9], 12
	v_lshl_add_u64 v[6:7], v[6:7], 0, s[6:7]
	s_movk_i32 s6, 0xff1f
	s_mov_b32 s8, 0
	v_and_or_b32 v0, v2, s6, 32
	v_lshlrev_b32_e32 v10, 6, v3
	v_mov_b32_e32 v2, v11
	v_mov_b32_e32 v3, v11
	v_readfirstlane_b32 s6, v6
	v_readfirstlane_b32 s7, v7
	s_mov_b32 s9, s8
	s_mov_b32 s10, s8
	;; [unrolled: 1-line block ×3, first 2 shown]
	s_nop 1
	global_store_dwordx4 v10, v[0:3], s[6:7]
	s_nop 1
	v_mov_b64_e32 v[0:1], s[8:9]
	v_mov_b64_e32 v[2:3], s[10:11]
	global_store_dwordx4 v10, v[0:3], s[6:7] offset:16
	global_store_dwordx4 v10, v[0:3], s[6:7] offset:32
	;; [unrolled: 1-line block ×3, first 2 shown]
	s_and_saveexec_b64 s[6:7], s[0:1]
	s_cbranch_execz .LBB5_104
; %bb.97:
	v_mov_b32_e32 v12, 0
	global_load_dwordx2 v[16:17], v12, s[2:3] offset:32 sc0 sc1
	global_load_dwordx2 v[0:1], v12, s[2:3] offset:40
	v_mov_b32_e32 v14, s4
	v_mov_b32_e32 v15, s5
	s_waitcnt vmcnt(0)
	v_and_b32_e32 v0, s4, v0
	v_and_b32_e32 v1, s5, v1
	v_mul_lo_u32 v1, v1, 24
	v_mul_hi_u32 v2, v0, 24
	v_mul_lo_u32 v0, v0, 24
	v_add_u32_e32 v1, v2, v1
	v_lshl_add_u64 v[4:5], v[4:5], 0, v[0:1]
	global_store_dwordx2 v[4:5], v[16:17], off
	buffer_wbl2 sc0 sc1
	s_waitcnt vmcnt(0)
	global_atomic_cmpswap_x2 v[2:3], v12, v[14:17], s[2:3] offset:32 sc0 sc1
	s_waitcnt vmcnt(0)
	v_cmp_ne_u64_e32 vcc, v[2:3], v[16:17]
	s_and_saveexec_b64 s[8:9], vcc
	s_cbranch_execz .LBB5_100
; %bb.98:
	s_mov_b64 s[10:11], 0
.LBB5_99:                               ; =>This Inner Loop Header: Depth=1
	s_sleep 1
	global_store_dwordx2 v[4:5], v[2:3], off
	v_mov_b32_e32 v0, s4
	v_mov_b32_e32 v1, s5
	buffer_wbl2 sc0 sc1
	s_waitcnt vmcnt(0)
	global_atomic_cmpswap_x2 v[0:1], v12, v[0:3], s[2:3] offset:32 sc0 sc1
	s_waitcnt vmcnt(0)
	v_cmp_eq_u64_e32 vcc, v[0:1], v[2:3]
	s_or_b64 s[10:11], vcc, s[10:11]
	v_mov_b64_e32 v[2:3], v[0:1]
	s_andn2_b64 exec, exec, s[10:11]
	s_cbranch_execnz .LBB5_99
.LBB5_100:
	s_or_b64 exec, exec, s[8:9]
	v_mov_b32_e32 v3, 0
	global_load_dwordx2 v[0:1], v3, s[2:3] offset:16
	s_mov_b64 s[8:9], exec
	v_mbcnt_lo_u32_b32 v2, s8, 0
	v_mbcnt_hi_u32_b32 v2, s9, v2
	v_cmp_eq_u32_e32 vcc, 0, v2
	s_and_saveexec_b64 s[10:11], vcc
	s_cbranch_execz .LBB5_102
; %bb.101:
	s_bcnt1_i32_b64 s8, s[8:9]
	v_mov_b32_e32 v2, s8
	buffer_wbl2 sc0 sc1
	s_waitcnt vmcnt(0)
	global_atomic_add_x2 v[0:1], v[2:3], off offset:8 sc1
.LBB5_102:
	s_or_b64 exec, exec, s[10:11]
	s_waitcnt vmcnt(0)
	global_load_dwordx2 v[2:3], v[0:1], off offset:16
	s_waitcnt vmcnt(0)
	v_cmp_eq_u64_e32 vcc, 0, v[2:3]
	s_cbranch_vccnz .LBB5_104
; %bb.103:
	global_load_dword v0, v[0:1], off offset:24
	v_mov_b32_e32 v1, 0
	s_waitcnt vmcnt(0)
	v_readfirstlane_b32 s8, v0
	s_and_b32 m0, s8, 0xffffff
	buffer_wbl2 sc0 sc1
	global_store_dwordx2 v[2:3], v[0:1], off sc0 sc1
	s_sendmsg sendmsg(MSG_INTERRUPT)
.LBB5_104:
	s_or_b64 exec, exec, s[6:7]
	v_lshl_add_u64 v[0:1], v[6:7], 0, v[10:11]
	s_branch .LBB5_108
.LBB5_105:                              ;   in Loop: Header=BB5_108 Depth=1
	s_or_b64 exec, exec, s[6:7]
	v_readfirstlane_b32 s6, v2
	s_cmp_eq_u32 s6, 0
	s_cbranch_scc1 .LBB5_107
; %bb.106:                              ;   in Loop: Header=BB5_108 Depth=1
	s_sleep 1
	s_cbranch_execnz .LBB5_108
	s_branch .LBB5_110
.LBB5_107:
	s_branch .LBB5_110
.LBB5_108:                              ; =>This Inner Loop Header: Depth=1
	v_mov_b32_e32 v2, 1
	s_and_saveexec_b64 s[6:7], s[0:1]
	s_cbranch_execz .LBB5_105
; %bb.109:                              ;   in Loop: Header=BB5_108 Depth=1
	global_load_dword v2, v[8:9], off offset:20 sc0 sc1
	s_waitcnt vmcnt(0)
	buffer_inv sc0 sc1
	v_and_b32_e32 v2, 1, v2
	s_branch .LBB5_105
.LBB5_110:
	global_load_dwordx2 v[6:7], v[0:1], off
	s_and_saveexec_b64 s[6:7], s[0:1]
	s_cbranch_execz .LBB5_113
; %bb.111:
	v_mov_b32_e32 v8, 0
	global_load_dwordx2 v[0:1], v8, s[2:3] offset:40
	global_load_dwordx2 v[12:13], v8, s[2:3] offset:24 sc0 sc1
	global_load_dwordx2 v[2:3], v8, s[2:3]
	s_waitcnt vmcnt(2)
	v_readfirstlane_b32 s8, v0
	v_readfirstlane_b32 s9, v1
	s_add_u32 s10, s8, 1
	s_addc_u32 s11, s9, 0
	s_add_u32 s0, s10, s4
	s_addc_u32 s1, s11, s5
	s_cmp_eq_u64 s[0:1], 0
	s_cselect_b32 s1, s11, s1
	s_cselect_b32 s0, s10, s0
	s_and_b64 s[4:5], s[0:1], s[8:9]
	s_mul_i32 s5, s5, 24
	s_mul_hi_u32 s8, s4, 24
	s_mul_i32 s4, s4, 24
	s_add_i32 s5, s8, s5
	s_waitcnt vmcnt(0)
	v_lshl_add_u64 v[4:5], v[2:3], 0, s[4:5]
	v_mov_b32_e32 v10, s0
	global_store_dwordx2 v[4:5], v[12:13], off
	v_mov_b32_e32 v11, s1
	buffer_wbl2 sc0 sc1
	s_waitcnt vmcnt(0)
	global_atomic_cmpswap_x2 v[2:3], v8, v[10:13], s[2:3] offset:24 sc0 sc1
	s_mov_b64 s[4:5], 0
	s_waitcnt vmcnt(0)
	v_cmp_ne_u64_e32 vcc, v[2:3], v[12:13]
	s_and_b64 exec, exec, vcc
	s_cbranch_execz .LBB5_113
.LBB5_112:                              ; =>This Inner Loop Header: Depth=1
	s_sleep 1
	global_store_dwordx2 v[4:5], v[2:3], off
	v_mov_b32_e32 v0, s0
	v_mov_b32_e32 v1, s1
	buffer_wbl2 sc0 sc1
	s_waitcnt vmcnt(0)
	global_atomic_cmpswap_x2 v[0:1], v8, v[0:3], s[2:3] offset:24 sc0 sc1
	s_waitcnt vmcnt(0)
	v_cmp_eq_u64_e32 vcc, v[0:1], v[2:3]
	s_or_b64 s[4:5], vcc, s[4:5]
	v_mov_b64_e32 v[2:3], v[0:1]
	s_andn2_b64 exec, exec, s[4:5]
	s_cbranch_execnz .LBB5_112
.LBB5_113:
	s_or_b64 exec, exec, s[6:7]
	s_waitcnt vmcnt(0)
	v_mov_b32_e32 v0, v6
	v_mov_b32_e32 v1, v7
	s_waitcnt lgkmcnt(0)
	s_setpc_b64 s[30:31]
.Lfunc_end5:
	.size	__ockl_printf_append_string_n, .Lfunc_end5-__ockl_printf_append_string_n
                                        ; -- End function
	.set .L__ockl_printf_append_string_n.num_vgpr, 52
	.set .L__ockl_printf_append_string_n.num_agpr, 0
	.set .L__ockl_printf_append_string_n.numbered_sgpr, 32
	.set .L__ockl_printf_append_string_n.num_named_barrier, 0
	.set .L__ockl_printf_append_string_n.private_seg_size, 0
	.set .L__ockl_printf_append_string_n.uses_vcc, 1
	.set .L__ockl_printf_append_string_n.uses_flat_scratch, 0
	.set .L__ockl_printf_append_string_n.has_dyn_sized_stack, 0
	.set .L__ockl_printf_append_string_n.has_recursion, 0
	.set .L__ockl_printf_append_string_n.has_indirect_call, 0
	.section	.AMDGPU.csdata,"",@progbits
; Function info:
; codeLenInByte = 3812
; TotalNumSgprs: 38
; NumVgprs: 52
; NumAgprs: 0
; TotalNumVgprs: 52
; ScratchSize: 0
; MemoryBound: 0
	.text
	.p2align	2                               ; -- Begin function __ockl_printf_append_args
	.type	__ockl_printf_append_args,@function
__ockl_printf_append_args:              ; @__ockl_printf_append_args
; %bb.0:
	s_waitcnt vmcnt(0) expcnt(0) lgkmcnt(0)
	s_load_dwordx2 s[2:3], s[8:9], 0x50
	v_mbcnt_lo_u32_b32 v5, -1, 0
	v_mbcnt_hi_u32_b32 v5, -1, v5
	v_mov_b64_e32 v[10:11], 0
	v_readfirstlane_b32 s0, v5
	s_nop 1
	v_cmp_eq_u32_e64 s[0:1], s0, v5
	s_and_saveexec_b64 s[4:5], s[0:1]
	s_cbranch_execz .LBB6_6
; %bb.1:
	v_mov_b32_e32 v6, 0
	s_waitcnt lgkmcnt(0)
	global_load_dwordx2 v[12:13], v6, s[2:3] offset:24 sc0 sc1
	s_waitcnt vmcnt(0)
	buffer_inv sc0 sc1
	global_load_dwordx2 v[8:9], v6, s[2:3] offset:40
	global_load_dwordx2 v[10:11], v6, s[2:3]
	s_waitcnt vmcnt(1)
	v_and_b32_e32 v7, v8, v12
	v_and_b32_e32 v8, v9, v13
	v_mul_lo_u32 v8, v8, 24
	v_mul_hi_u32 v9, v7, 24
	v_add_u32_e32 v9, v9, v8
	v_mul_lo_u32 v8, v7, 24
	s_waitcnt vmcnt(0)
	v_lshl_add_u64 v[8:9], v[10:11], 0, v[8:9]
	global_load_dwordx2 v[10:11], v[8:9], off sc0 sc1
	s_waitcnt vmcnt(0)
	global_atomic_cmpswap_x2 v[10:11], v6, v[10:13], s[2:3] offset:24 sc0 sc1
	s_waitcnt vmcnt(0)
	buffer_inv sc0 sc1
	v_cmp_ne_u64_e32 vcc, v[10:11], v[12:13]
	s_and_saveexec_b64 s[6:7], vcc
	s_cbranch_execz .LBB6_5
; %bb.2:
	s_mov_b64 s[8:9], 0
.LBB6_3:                                ; =>This Inner Loop Header: Depth=1
	s_sleep 1
	global_load_dwordx2 v[8:9], v6, s[2:3] offset:40
	global_load_dwordx2 v[14:15], v6, s[2:3]
	v_mov_b64_e32 v[12:13], v[10:11]
	s_waitcnt vmcnt(1)
	v_and_b32_e32 v8, v8, v12
	v_and_b32_e32 v7, v9, v13
	s_waitcnt vmcnt(0)
	v_mad_u64_u32 v[8:9], s[10:11], v8, 24, v[14:15]
	v_mov_b32_e32 v10, v9
	v_mad_u64_u32 v[10:11], s[10:11], v7, 24, v[10:11]
	v_mov_b32_e32 v9, v10
	global_load_dwordx2 v[10:11], v[8:9], off sc0 sc1
	s_waitcnt vmcnt(0)
	global_atomic_cmpswap_x2 v[10:11], v6, v[10:13], s[2:3] offset:24 sc0 sc1
	s_waitcnt vmcnt(0)
	buffer_inv sc0 sc1
	v_cmp_eq_u64_e32 vcc, v[10:11], v[12:13]
	s_or_b64 s[8:9], vcc, s[8:9]
	s_andn2_b64 exec, exec, s[8:9]
	s_cbranch_execnz .LBB6_3
; %bb.4:
	s_or_b64 exec, exec, s[8:9]
.LBB6_5:
	s_or_b64 exec, exec, s[6:7]
.LBB6_6:
	s_or_b64 exec, exec, s[4:5]
	v_mov_b32_e32 v14, 0
	s_waitcnt lgkmcnt(0)
	global_load_dwordx2 v[12:13], v14, s[2:3] offset:40
	global_load_dwordx4 v[6:9], v14, s[2:3]
	v_readfirstlane_b32 s5, v11
	v_readfirstlane_b32 s4, v10
	s_mov_b64 s[6:7], exec
	s_waitcnt vmcnt(1)
	v_readfirstlane_b32 s8, v12
	v_readfirstlane_b32 s9, v13
	s_and_b64 s[8:9], s[8:9], s[4:5]
	s_mul_i32 s10, s9, 24
	s_mul_hi_u32 s11, s8, 24
	s_add_i32 s11, s11, s10
	s_mul_i32 s10, s8, 24
	s_waitcnt vmcnt(0)
	v_lshl_add_u64 v[10:11], v[6:7], 0, s[10:11]
	s_and_saveexec_b64 s[10:11], s[0:1]
	s_cbranch_execz .LBB6_8
; %bb.7:
	v_mov_b64_e32 v[12:13], s[6:7]
	v_mov_b32_e32 v14, 2
	v_mov_b32_e32 v15, 1
	global_store_dwordx4 v[10:11], v[12:15], off offset:8
.LBB6_8:
	s_or_b64 exec, exec, s[10:11]
	s_lshl_b64 s[6:7], s[8:9], 12
	v_or_b32_e32 v12, 2, v0
	v_cmp_eq_u32_e32 vcc, 0, v4
	v_lshl_add_u64 v[8:9], v[8:9], 0, s[6:7]
	s_mov_b32 s8, 0
	v_cndmask_b32_e32 v0, v12, v0, vcc
	s_movk_i32 s6, 0xff1f
	v_and_or_b32 v0, v0, s6, 32
	v_lshlrev_b32_e32 v4, 6, v5
	v_readfirstlane_b32 s6, v8
	v_readfirstlane_b32 s7, v9
	s_mov_b32 s9, s8
	s_mov_b32 s10, s8
	;; [unrolled: 1-line block ×3, first 2 shown]
	s_nop 1
	global_store_dwordx4 v4, v[0:3], s[6:7]
	s_nop 1
	v_mov_b64_e32 v[0:1], s[8:9]
	v_mov_b64_e32 v[2:3], s[10:11]
	global_store_dwordx4 v4, v[0:3], s[6:7] offset:16
	global_store_dwordx4 v4, v[0:3], s[6:7] offset:32
	;; [unrolled: 1-line block ×3, first 2 shown]
	s_and_saveexec_b64 s[6:7], s[0:1]
	s_cbranch_execz .LBB6_16
; %bb.9:
	v_mov_b32_e32 v8, 0
	global_load_dwordx2 v[14:15], v8, s[2:3] offset:32 sc0 sc1
	global_load_dwordx2 v[0:1], v8, s[2:3] offset:40
	v_mov_b32_e32 v12, s4
	v_mov_b32_e32 v13, s5
	s_waitcnt vmcnt(0)
	v_and_b32_e32 v0, s4, v0
	v_and_b32_e32 v1, s5, v1
	v_mul_lo_u32 v1, v1, 24
	v_mul_hi_u32 v2, v0, 24
	v_mul_lo_u32 v0, v0, 24
	v_add_u32_e32 v1, v2, v1
	v_lshl_add_u64 v[4:5], v[6:7], 0, v[0:1]
	global_store_dwordx2 v[4:5], v[14:15], off
	buffer_wbl2 sc0 sc1
	s_waitcnt vmcnt(0)
	global_atomic_cmpswap_x2 v[2:3], v8, v[12:15], s[2:3] offset:32 sc0 sc1
	s_waitcnt vmcnt(0)
	v_cmp_ne_u64_e32 vcc, v[2:3], v[14:15]
	s_and_saveexec_b64 s[8:9], vcc
	s_cbranch_execz .LBB6_12
; %bb.10:
	s_mov_b64 s[10:11], 0
.LBB6_11:                               ; =>This Inner Loop Header: Depth=1
	s_sleep 1
	global_store_dwordx2 v[4:5], v[2:3], off
	v_mov_b32_e32 v0, s4
	v_mov_b32_e32 v1, s5
	buffer_wbl2 sc0 sc1
	s_waitcnt vmcnt(0)
	global_atomic_cmpswap_x2 v[0:1], v8, v[0:3], s[2:3] offset:32 sc0 sc1
	s_waitcnt vmcnt(0)
	v_cmp_eq_u64_e32 vcc, v[0:1], v[2:3]
	s_or_b64 s[10:11], vcc, s[10:11]
	v_mov_b64_e32 v[2:3], v[0:1]
	s_andn2_b64 exec, exec, s[10:11]
	s_cbranch_execnz .LBB6_11
.LBB6_12:
	s_or_b64 exec, exec, s[8:9]
	v_mov_b32_e32 v3, 0
	global_load_dwordx2 v[0:1], v3, s[2:3] offset:16
	s_mov_b64 s[8:9], exec
	v_mbcnt_lo_u32_b32 v2, s8, 0
	v_mbcnt_hi_u32_b32 v2, s9, v2
	v_cmp_eq_u32_e32 vcc, 0, v2
	s_and_saveexec_b64 s[10:11], vcc
	s_cbranch_execz .LBB6_14
; %bb.13:
	s_bcnt1_i32_b64 s8, s[8:9]
	v_mov_b32_e32 v2, s8
	buffer_wbl2 sc0 sc1
	s_waitcnt vmcnt(0)
	global_atomic_add_x2 v[0:1], v[2:3], off offset:8 sc1
.LBB6_14:
	s_or_b64 exec, exec, s[10:11]
	s_waitcnt vmcnt(0)
	global_load_dwordx2 v[2:3], v[0:1], off offset:16
	s_waitcnt vmcnt(0)
	v_cmp_eq_u64_e32 vcc, 0, v[2:3]
	s_cbranch_vccnz .LBB6_16
; %bb.15:
	global_load_dword v0, v[0:1], off offset:24
	v_mov_b32_e32 v1, 0
	s_waitcnt vmcnt(0)
	v_readfirstlane_b32 s8, v0
	s_and_b32 m0, s8, 0xffffff
	buffer_wbl2 sc0 sc1
	global_store_dwordx2 v[2:3], v[0:1], off sc0 sc1
	s_sendmsg sendmsg(MSG_INTERRUPT)
.LBB6_16:
	s_or_b64 exec, exec, s[6:7]
	s_branch .LBB6_20
.LBB6_17:                               ;   in Loop: Header=BB6_20 Depth=1
	s_or_b64 exec, exec, s[6:7]
	v_readfirstlane_b32 s6, v0
	s_cmp_eq_u32 s6, 0
	s_cbranch_scc1 .LBB6_19
; %bb.18:                               ;   in Loop: Header=BB6_20 Depth=1
	s_sleep 1
	s_cbranch_execnz .LBB6_20
	s_branch .LBB6_22
.LBB6_19:
	s_branch .LBB6_22
.LBB6_20:                               ; =>This Inner Loop Header: Depth=1
	v_mov_b32_e32 v0, 1
	s_and_saveexec_b64 s[6:7], s[0:1]
	s_cbranch_execz .LBB6_17
; %bb.21:                               ;   in Loop: Header=BB6_20 Depth=1
	global_load_dword v0, v[10:11], off offset:20 sc0 sc1
	s_waitcnt vmcnt(0)
	buffer_inv sc0 sc1
	v_and_b32_e32 v0, 1, v0
	s_branch .LBB6_17
.LBB6_22:
	s_and_saveexec_b64 s[6:7], s[0:1]
	s_cbranch_execz .LBB6_25
; %bb.23:
	v_mov_b32_e32 v6, 0
	global_load_dwordx2 v[0:1], v6, s[2:3] offset:40
	global_load_dwordx2 v[10:11], v6, s[2:3] offset:24 sc0 sc1
	global_load_dwordx2 v[2:3], v6, s[2:3]
	s_waitcnt vmcnt(2)
	v_readfirstlane_b32 s8, v0
	v_readfirstlane_b32 s9, v1
	s_add_u32 s10, s8, 1
	s_addc_u32 s11, s9, 0
	s_add_u32 s0, s10, s4
	s_addc_u32 s1, s11, s5
	s_cmp_eq_u64 s[0:1], 0
	s_cselect_b32 s1, s11, s1
	s_cselect_b32 s0, s10, s0
	s_and_b64 s[4:5], s[0:1], s[8:9]
	s_mul_i32 s5, s5, 24
	s_mul_hi_u32 s8, s4, 24
	s_mul_i32 s4, s4, 24
	s_add_i32 s5, s8, s5
	s_waitcnt vmcnt(0)
	v_lshl_add_u64 v[4:5], v[2:3], 0, s[4:5]
	v_mov_b32_e32 v8, s0
	global_store_dwordx2 v[4:5], v[10:11], off
	v_mov_b32_e32 v9, s1
	buffer_wbl2 sc0 sc1
	s_waitcnt vmcnt(0)
	global_atomic_cmpswap_x2 v[2:3], v6, v[8:11], s[2:3] offset:24 sc0 sc1
	s_mov_b64 s[4:5], 0
	s_waitcnt vmcnt(0)
	v_cmp_ne_u64_e32 vcc, v[2:3], v[10:11]
	s_and_b64 exec, exec, vcc
	s_cbranch_execz .LBB6_25
.LBB6_24:                               ; =>This Inner Loop Header: Depth=1
	s_sleep 1
	global_store_dwordx2 v[4:5], v[2:3], off
	v_mov_b32_e32 v0, s0
	v_mov_b32_e32 v1, s1
	buffer_wbl2 sc0 sc1
	s_waitcnt vmcnt(0)
	global_atomic_cmpswap_x2 v[0:1], v6, v[0:3], s[2:3] offset:24 sc0 sc1
	s_waitcnt vmcnt(0)
	v_cmp_eq_u64_e32 vcc, v[0:1], v[2:3]
	s_or_b64 s[4:5], vcc, s[4:5]
	v_mov_b64_e32 v[2:3], v[0:1]
	s_andn2_b64 exec, exec, s[4:5]
	s_cbranch_execnz .LBB6_24
.LBB6_25:
	s_or_b64 exec, exec, s[6:7]
	s_waitcnt vmcnt(0) lgkmcnt(0)
	s_setpc_b64 s[30:31]
.Lfunc_end6:
	.size	__ockl_printf_append_args, .Lfunc_end6-__ockl_printf_append_args
                                        ; -- End function
	.set .L__ockl_printf_append_args.num_vgpr, 16
	.set .L__ockl_printf_append_args.num_agpr, 0
	.set .L__ockl_printf_append_args.numbered_sgpr, 32
	.set .L__ockl_printf_append_args.num_named_barrier, 0
	.set .L__ockl_printf_append_args.private_seg_size, 0
	.set .L__ockl_printf_append_args.uses_vcc, 1
	.set .L__ockl_printf_append_args.uses_flat_scratch, 0
	.set .L__ockl_printf_append_args.has_dyn_sized_stack, 0
	.set .L__ockl_printf_append_args.has_recursion, 0
	.set .L__ockl_printf_append_args.has_indirect_call, 0
	.section	.AMDGPU.csdata,"",@progbits
; Function info:
; codeLenInByte = 1216
; TotalNumSgprs: 38
; NumVgprs: 16
; NumAgprs: 0
; TotalNumVgprs: 16
; ScratchSize: 0
; MemoryBound: 0
	.text
	.p2align	2                               ; -- Begin function _ZL14no_device_codePKciS0_iS0_
	.type	_ZL14no_device_codePKciS0_iS0_,@function
_ZL14no_device_codePKciS0_iS0_:         ; @_ZL14no_device_codePKciS0_iS0_
; %bb.0:
	s_waitcnt vmcnt(0) expcnt(0) lgkmcnt(0)
	s_mov_b32 s20, s33
	s_mov_b32 s33, s32
	s_or_saveexec_b64 s[0:1], -1
	scratch_store_dword off, v40, s33       ; 4-byte Folded Spill
	s_mov_b64 exec, s[0:1]
	v_writelane_b32 v40, s30, 0
	s_add_i32 s32, s32, 16
	s_nop 0
	v_writelane_b32 v40, s31, 1
	s_load_dwordx2 s[2:3], s[8:9], 0x50
	v_mbcnt_lo_u32_b32 v0, -1, 0
	v_mbcnt_hi_u32_b32 v25, -1, v0
	v_mov_b64_e32 v[4:5], 0
	v_readfirstlane_b32 s0, v25
	s_nop 1
	v_cmp_eq_u32_e64 s[0:1], s0, v25
	s_and_saveexec_b64 s[4:5], s[0:1]
	s_cbranch_execz .LBB7_6
; %bb.1:
	v_mov_b32_e32 v0, 0
	s_waitcnt lgkmcnt(0)
	global_load_dwordx2 v[6:7], v0, s[2:3] offset:24 sc0 sc1
	s_waitcnt vmcnt(0)
	buffer_inv sc0 sc1
	global_load_dwordx2 v[2:3], v0, s[2:3] offset:40
	global_load_dwordx2 v[4:5], v0, s[2:3]
	s_waitcnt vmcnt(1)
	v_and_b32_e32 v1, v2, v6
	v_and_b32_e32 v2, v3, v7
	v_mul_lo_u32 v2, v2, 24
	v_mul_hi_u32 v3, v1, 24
	v_add_u32_e32 v3, v3, v2
	v_mul_lo_u32 v2, v1, 24
	s_waitcnt vmcnt(0)
	v_lshl_add_u64 v[2:3], v[4:5], 0, v[2:3]
	global_load_dwordx2 v[4:5], v[2:3], off sc0 sc1
	s_waitcnt vmcnt(0)
	global_atomic_cmpswap_x2 v[4:5], v0, v[4:7], s[2:3] offset:24 sc0 sc1
	s_waitcnt vmcnt(0)
	buffer_inv sc0 sc1
	v_cmp_ne_u64_e32 vcc, v[4:5], v[6:7]
	s_and_saveexec_b64 s[6:7], vcc
	s_cbranch_execz .LBB7_5
; %bb.2:
	s_mov_b64 s[10:11], 0
.LBB7_3:                                ; =>This Inner Loop Header: Depth=1
	s_sleep 1
	global_load_dwordx2 v[2:3], v0, s[2:3] offset:40
	global_load_dwordx2 v[8:9], v0, s[2:3]
	v_mov_b64_e32 v[6:7], v[4:5]
	s_waitcnt vmcnt(1)
	v_and_b32_e32 v2, v2, v6
	v_and_b32_e32 v1, v3, v7
	s_waitcnt vmcnt(0)
	v_mad_u64_u32 v[2:3], s[12:13], v2, 24, v[8:9]
	v_mov_b32_e32 v4, v3
	v_mad_u64_u32 v[4:5], s[12:13], v1, 24, v[4:5]
	v_mov_b32_e32 v3, v4
	global_load_dwordx2 v[4:5], v[2:3], off sc0 sc1
	s_waitcnt vmcnt(0)
	global_atomic_cmpswap_x2 v[4:5], v0, v[4:7], s[2:3] offset:24 sc0 sc1
	s_waitcnt vmcnt(0)
	buffer_inv sc0 sc1
	v_cmp_eq_u64_e32 vcc, v[4:5], v[6:7]
	s_or_b64 s[10:11], vcc, s[10:11]
	s_andn2_b64 exec, exec, s[10:11]
	s_cbranch_execnz .LBB7_3
; %bb.4:
	s_or_b64 exec, exec, s[10:11]
.LBB7_5:
	s_or_b64 exec, exec, s[6:7]
.LBB7_6:
	s_or_b64 exec, exec, s[4:5]
	v_mov_b32_e32 v23, 0
	s_waitcnt lgkmcnt(0)
	global_load_dwordx2 v[6:7], v23, s[2:3] offset:40
	global_load_dwordx4 v[0:3], v23, s[2:3]
	v_readfirstlane_b32 s5, v5
	v_readfirstlane_b32 s4, v4
	s_mov_b64 s[6:7], exec
	s_waitcnt vmcnt(1)
	v_readfirstlane_b32 s10, v6
	v_readfirstlane_b32 s11, v7
	s_and_b64 s[10:11], s[10:11], s[4:5]
	s_mul_i32 s12, s11, 24
	s_mul_hi_u32 s13, s10, 24
	s_add_i32 s13, s13, s12
	s_mul_i32 s12, s10, 24
	s_waitcnt vmcnt(0)
	v_lshl_add_u64 v[4:5], v[0:1], 0, s[12:13]
	s_and_saveexec_b64 s[12:13], s[0:1]
	s_cbranch_execz .LBB7_8
; %bb.7:
	v_mov_b64_e32 v[6:7], s[6:7]
	v_mov_b32_e32 v8, 2
	v_mov_b32_e32 v9, 1
	global_store_dwordx4 v[4:5], v[6:9], off offset:8
.LBB7_8:
	s_or_b64 exec, exec, s[12:13]
	s_lshl_b64 s[6:7], s[10:11], 12
	v_lshl_add_u64 v[6:7], v[2:3], 0, s[6:7]
	s_mov_b32 s12, 0
	v_lshlrev_b32_e32 v22, 6, v25
	v_mov_b32_e32 v8, 33
	v_mov_b32_e32 v9, v23
	;; [unrolled: 1-line block ×4, first 2 shown]
	v_readfirstlane_b32 s6, v6
	v_readfirstlane_b32 s7, v7
	s_mov_b32 s13, s12
	s_mov_b32 s14, s12
	;; [unrolled: 1-line block ×3, first 2 shown]
	s_nop 1
	global_store_dwordx4 v22, v[8:11], s[6:7]
	s_nop 1
	v_mov_b64_e32 v[8:9], s[12:13]
	v_mov_b64_e32 v[10:11], s[14:15]
	global_store_dwordx4 v22, v[8:11], s[6:7] offset:16
	global_store_dwordx4 v22, v[8:11], s[6:7] offset:32
	;; [unrolled: 1-line block ×3, first 2 shown]
	s_and_saveexec_b64 s[6:7], s[0:1]
	s_cbranch_execz .LBB7_16
; %bb.9:
	v_mov_b32_e32 v10, 0
	global_load_dwordx2 v[14:15], v10, s[2:3] offset:32 sc0 sc1
	global_load_dwordx2 v[2:3], v10, s[2:3] offset:40
	v_mov_b32_e32 v12, s4
	v_mov_b32_e32 v13, s5
	s_waitcnt vmcnt(0)
	v_and_b32_e32 v2, s4, v2
	v_and_b32_e32 v3, s5, v3
	v_mul_lo_u32 v3, v3, 24
	v_mul_hi_u32 v8, v2, 24
	v_mul_lo_u32 v2, v2, 24
	v_add_u32_e32 v3, v8, v3
	v_lshl_add_u64 v[8:9], v[0:1], 0, v[2:3]
	global_store_dwordx2 v[8:9], v[14:15], off
	buffer_wbl2 sc0 sc1
	s_waitcnt vmcnt(0)
	global_atomic_cmpswap_x2 v[2:3], v10, v[12:15], s[2:3] offset:32 sc0 sc1
	s_waitcnt vmcnt(0)
	v_cmp_ne_u64_e32 vcc, v[2:3], v[14:15]
	s_and_saveexec_b64 s[10:11], vcc
	s_cbranch_execz .LBB7_12
; %bb.10:
	s_mov_b64 s[12:13], 0
.LBB7_11:                               ; =>This Inner Loop Header: Depth=1
	s_sleep 1
	global_store_dwordx2 v[8:9], v[2:3], off
	v_mov_b32_e32 v0, s4
	v_mov_b32_e32 v1, s5
	buffer_wbl2 sc0 sc1
	s_waitcnt vmcnt(0)
	global_atomic_cmpswap_x2 v[0:1], v10, v[0:3], s[2:3] offset:32 sc0 sc1
	s_waitcnt vmcnt(0)
	v_cmp_eq_u64_e32 vcc, v[0:1], v[2:3]
	s_or_b64 s[12:13], vcc, s[12:13]
	v_mov_b64_e32 v[2:3], v[0:1]
	s_andn2_b64 exec, exec, s[12:13]
	s_cbranch_execnz .LBB7_11
.LBB7_12:
	s_or_b64 exec, exec, s[10:11]
	v_mov_b32_e32 v3, 0
	global_load_dwordx2 v[0:1], v3, s[2:3] offset:16
	s_mov_b64 s[10:11], exec
	v_mbcnt_lo_u32_b32 v2, s10, 0
	v_mbcnt_hi_u32_b32 v2, s11, v2
	v_cmp_eq_u32_e32 vcc, 0, v2
	s_and_saveexec_b64 s[12:13], vcc
	s_cbranch_execz .LBB7_14
; %bb.13:
	s_bcnt1_i32_b64 s10, s[10:11]
	v_mov_b32_e32 v2, s10
	buffer_wbl2 sc0 sc1
	s_waitcnt vmcnt(0)
	global_atomic_add_x2 v[0:1], v[2:3], off offset:8 sc1
.LBB7_14:
	s_or_b64 exec, exec, s[12:13]
	s_waitcnt vmcnt(0)
	global_load_dwordx2 v[2:3], v[0:1], off offset:16
	s_waitcnt vmcnt(0)
	v_cmp_eq_u64_e32 vcc, 0, v[2:3]
	s_cbranch_vccnz .LBB7_16
; %bb.15:
	global_load_dword v0, v[0:1], off offset:24
	v_mov_b32_e32 v1, 0
	s_waitcnt vmcnt(0)
	v_readfirstlane_b32 s10, v0
	s_and_b32 m0, s10, 0xffffff
	buffer_wbl2 sc0 sc1
	global_store_dwordx2 v[2:3], v[0:1], off sc0 sc1
	s_sendmsg sendmsg(MSG_INTERRUPT)
.LBB7_16:
	s_or_b64 exec, exec, s[6:7]
	v_lshl_add_u64 v[0:1], v[6:7], 0, v[22:23]
	s_branch .LBB7_20
.LBB7_17:                               ;   in Loop: Header=BB7_20 Depth=1
	s_or_b64 exec, exec, s[6:7]
	v_readfirstlane_b32 s6, v2
	s_cmp_eq_u32 s6, 0
	s_cbranch_scc1 .LBB7_19
; %bb.18:                               ;   in Loop: Header=BB7_20 Depth=1
	s_sleep 1
	s_cbranch_execnz .LBB7_20
	s_branch .LBB7_22
.LBB7_19:
	s_branch .LBB7_22
.LBB7_20:                               ; =>This Inner Loop Header: Depth=1
	v_mov_b32_e32 v2, 1
	s_and_saveexec_b64 s[6:7], s[0:1]
	s_cbranch_execz .LBB7_17
; %bb.21:                               ;   in Loop: Header=BB7_20 Depth=1
	global_load_dword v2, v[4:5], off offset:20 sc0 sc1
	s_waitcnt vmcnt(0)
	buffer_inv sc0 sc1
	v_and_b32_e32 v2, 1, v2
	s_branch .LBB7_17
.LBB7_22:
	global_load_dwordx2 v[4:5], v[0:1], off
	s_and_saveexec_b64 s[6:7], s[0:1]
	s_cbranch_execz .LBB7_25
; %bb.23:
	v_mov_b32_e32 v8, 0
	global_load_dwordx2 v[0:1], v8, s[2:3] offset:40
	global_load_dwordx2 v[12:13], v8, s[2:3] offset:24 sc0 sc1
	global_load_dwordx2 v[2:3], v8, s[2:3]
	s_waitcnt vmcnt(2)
	v_readfirstlane_b32 s10, v0
	v_readfirstlane_b32 s11, v1
	s_add_u32 s12, s10, 1
	s_addc_u32 s13, s11, 0
	s_add_u32 s0, s12, s4
	s_addc_u32 s1, s13, s5
	s_cmp_eq_u64 s[0:1], 0
	s_cselect_b32 s1, s13, s1
	s_cselect_b32 s0, s12, s0
	s_and_b64 s[4:5], s[0:1], s[10:11]
	s_mul_i32 s5, s5, 24
	s_mul_hi_u32 s10, s4, 24
	s_mul_i32 s4, s4, 24
	s_add_i32 s5, s10, s5
	s_waitcnt vmcnt(0)
	v_lshl_add_u64 v[6:7], v[2:3], 0, s[4:5]
	v_mov_b32_e32 v10, s0
	global_store_dwordx2 v[6:7], v[12:13], off
	v_mov_b32_e32 v11, s1
	buffer_wbl2 sc0 sc1
	s_waitcnt vmcnt(0)
	global_atomic_cmpswap_x2 v[2:3], v8, v[10:13], s[2:3] offset:24 sc0 sc1
	s_mov_b64 s[4:5], 0
	s_waitcnt vmcnt(0)
	v_cmp_ne_u64_e32 vcc, v[2:3], v[12:13]
	s_and_b64 exec, exec, vcc
	s_cbranch_execz .LBB7_25
.LBB7_24:                               ; =>This Inner Loop Header: Depth=1
	s_sleep 1
	global_store_dwordx2 v[6:7], v[2:3], off
	v_mov_b32_e32 v0, s0
	v_mov_b32_e32 v1, s1
	buffer_wbl2 sc0 sc1
	s_waitcnt vmcnt(0)
	global_atomic_cmpswap_x2 v[0:1], v8, v[0:3], s[2:3] offset:24 sc0 sc1
	s_waitcnt vmcnt(0)
	v_cmp_eq_u64_e32 vcc, v[0:1], v[2:3]
	s_or_b64 s[4:5], vcc, s[4:5]
	v_mov_b64_e32 v[2:3], v[0:1]
	s_andn2_b64 exec, exec, s[4:5]
	s_cbranch_execnz .LBB7_24
.LBB7_25:
	s_or_b64 exec, exec, s[6:7]
	s_getpc_b64 s[4:5]
	s_add_u32 s4, s4, .str.5@rel32@lo+4
	s_addc_u32 s5, s5, .str.5@rel32@hi+12
	s_cmp_lg_u64 s[4:5], 0
	s_cbranch_scc0 .LBB7_110
; %bb.26:
	s_waitcnt vmcnt(0)
	v_and_b32_e32 v24, 2, v4
	v_mov_b32_e32 v27, 0
	v_and_b32_e32 v0, -3, v4
	v_mov_b32_e32 v1, v5
	s_mov_b64 s[6:7], 0x4d
	v_mov_b32_e32 v32, 2
	v_mov_b32_e32 v33, 1
	s_branch .LBB7_28
.LBB7_27:                               ;   in Loop: Header=BB7_28 Depth=1
	s_or_b64 exec, exec, s[14:15]
	s_sub_u32 s6, s6, s10
	s_subb_u32 s7, s7, s11
	s_add_u32 s4, s4, s10
	s_addc_u32 s5, s5, s11
	s_cmp_lg_u64 s[6:7], 0
	s_cbranch_scc0 .LBB7_111
.LBB7_28:                               ; =>This Loop Header: Depth=1
                                        ;     Child Loop BB7_31 Depth 2
                                        ;     Child Loop BB7_39 Depth 2
	;; [unrolled: 1-line block ×11, first 2 shown]
	v_cmp_lt_u64_e64 s[0:1], s[6:7], 56
	s_and_b64 s[0:1], s[0:1], exec
	s_cselect_b32 s11, s7, 0
	s_cselect_b32 s10, s6, 56
	v_cmp_gt_u64_e64 s[12:13], s[6:7], 7
	s_add_u32 s0, s4, 8
	s_addc_u32 s1, s5, 0
	s_and_b64 vcc, exec, s[12:13]
	s_cbranch_vccnz .LBB7_32
; %bb.29:                               ;   in Loop: Header=BB7_28 Depth=1
	s_cmp_eq_u64 s[6:7], 0
	s_cbranch_scc1 .LBB7_33
; %bb.30:                               ;   in Loop: Header=BB7_28 Depth=1
	s_lshl_b64 s[0:1], s[10:11], 3
	s_mov_b64 s[12:13], 0
	v_mov_b64_e32 v[2:3], 0
	s_mov_b64 s[14:15], s[4:5]
.LBB7_31:                               ;   Parent Loop BB7_28 Depth=1
                                        ; =>  This Inner Loop Header: Depth=2
	global_load_ubyte v6, v27, s[14:15]
	s_waitcnt vmcnt(0)
	v_and_b32_e32 v26, 0xffff, v6
	v_lshlrev_b64 v[6:7], s12, v[26:27]
	s_add_u32 s12, s12, 8
	s_addc_u32 s13, s13, 0
	s_add_u32 s14, s14, 1
	s_addc_u32 s15, s15, 0
	v_or_b32_e32 v2, v6, v2
	s_cmp_lg_u32 s0, s12
	v_or_b32_e32 v3, v7, v3
	s_cbranch_scc1 .LBB7_31
	s_branch .LBB7_34
.LBB7_32:                               ;   in Loop: Header=BB7_28 Depth=1
	s_mov_b32 s16, 0
	s_branch .LBB7_35
.LBB7_33:                               ;   in Loop: Header=BB7_28 Depth=1
	v_mov_b64_e32 v[2:3], 0
.LBB7_34:                               ;   in Loop: Header=BB7_28 Depth=1
	s_mov_b64 s[0:1], s[4:5]
	s_mov_b32 s16, 0
	s_cbranch_execnz .LBB7_36
.LBB7_35:                               ;   in Loop: Header=BB7_28 Depth=1
	global_load_dwordx2 v[2:3], v27, s[4:5]
	s_add_i32 s16, s10, -8
.LBB7_36:                               ;   in Loop: Header=BB7_28 Depth=1
	s_add_u32 s12, s0, 8
	s_addc_u32 s13, s1, 0
	s_cmp_gt_u32 s16, 7
	s_cbranch_scc1 .LBB7_40
; %bb.37:                               ;   in Loop: Header=BB7_28 Depth=1
	s_cmp_eq_u32 s16, 0
	s_cbranch_scc1 .LBB7_41
; %bb.38:                               ;   in Loop: Header=BB7_28 Depth=1
	s_mov_b64 s[12:13], 0
	v_mov_b64_e32 v[6:7], 0
	s_mov_b64 s[14:15], 0
.LBB7_39:                               ;   Parent Loop BB7_28 Depth=1
                                        ; =>  This Inner Loop Header: Depth=2
	s_add_u32 s18, s0, s14
	s_addc_u32 s19, s1, s15
	global_load_ubyte v8, v27, s[18:19]
	s_add_u32 s14, s14, 1
	s_addc_u32 s15, s15, 0
	s_waitcnt vmcnt(0)
	v_and_b32_e32 v26, 0xffff, v8
	v_lshlrev_b64 v[8:9], s12, v[26:27]
	s_add_u32 s12, s12, 8
	s_addc_u32 s13, s13, 0
	v_or_b32_e32 v6, v8, v6
	s_cmp_lg_u32 s16, s14
	v_or_b32_e32 v7, v9, v7
	s_cbranch_scc1 .LBB7_39
	s_branch .LBB7_42
.LBB7_40:                               ;   in Loop: Header=BB7_28 Depth=1
                                        ; implicit-def: $vgpr6_vgpr7
	s_mov_b32 s17, 0
	s_branch .LBB7_43
.LBB7_41:                               ;   in Loop: Header=BB7_28 Depth=1
	v_mov_b64_e32 v[6:7], 0
.LBB7_42:                               ;   in Loop: Header=BB7_28 Depth=1
	s_mov_b64 s[12:13], s[0:1]
	s_mov_b32 s17, 0
	s_cbranch_execnz .LBB7_44
.LBB7_43:                               ;   in Loop: Header=BB7_28 Depth=1
	global_load_dwordx2 v[6:7], v27, s[0:1]
	s_add_i32 s17, s16, -8
.LBB7_44:                               ;   in Loop: Header=BB7_28 Depth=1
	s_add_u32 s0, s12, 8
	s_addc_u32 s1, s13, 0
	s_cmp_gt_u32 s17, 7
	s_cbranch_scc1 .LBB7_48
; %bb.45:                               ;   in Loop: Header=BB7_28 Depth=1
	s_cmp_eq_u32 s17, 0
	s_cbranch_scc1 .LBB7_49
; %bb.46:                               ;   in Loop: Header=BB7_28 Depth=1
	s_mov_b64 s[0:1], 0
	v_mov_b64_e32 v[8:9], 0
	s_mov_b64 s[14:15], 0
.LBB7_47:                               ;   Parent Loop BB7_28 Depth=1
                                        ; =>  This Inner Loop Header: Depth=2
	s_add_u32 s18, s12, s14
	s_addc_u32 s19, s13, s15
	global_load_ubyte v10, v27, s[18:19]
	s_add_u32 s14, s14, 1
	s_addc_u32 s15, s15, 0
	s_waitcnt vmcnt(0)
	v_and_b32_e32 v26, 0xffff, v10
	v_lshlrev_b64 v[10:11], s0, v[26:27]
	s_add_u32 s0, s0, 8
	s_addc_u32 s1, s1, 0
	v_or_b32_e32 v8, v10, v8
	s_cmp_lg_u32 s17, s14
	v_or_b32_e32 v9, v11, v9
	s_cbranch_scc1 .LBB7_47
	s_branch .LBB7_50
.LBB7_48:                               ;   in Loop: Header=BB7_28 Depth=1
	s_mov_b32 s16, 0
	s_branch .LBB7_51
.LBB7_49:                               ;   in Loop: Header=BB7_28 Depth=1
	v_mov_b64_e32 v[8:9], 0
.LBB7_50:                               ;   in Loop: Header=BB7_28 Depth=1
	s_mov_b64 s[0:1], s[12:13]
	s_mov_b32 s16, 0
	s_cbranch_execnz .LBB7_52
.LBB7_51:                               ;   in Loop: Header=BB7_28 Depth=1
	global_load_dwordx2 v[8:9], v27, s[12:13]
	s_add_i32 s16, s17, -8
.LBB7_52:                               ;   in Loop: Header=BB7_28 Depth=1
	s_add_u32 s12, s0, 8
	s_addc_u32 s13, s1, 0
	s_cmp_gt_u32 s16, 7
	s_cbranch_scc1 .LBB7_56
; %bb.53:                               ;   in Loop: Header=BB7_28 Depth=1
	s_cmp_eq_u32 s16, 0
	s_cbranch_scc1 .LBB7_57
; %bb.54:                               ;   in Loop: Header=BB7_28 Depth=1
	s_mov_b64 s[12:13], 0
	v_mov_b64_e32 v[10:11], 0
	s_mov_b64 s[14:15], 0
.LBB7_55:                               ;   Parent Loop BB7_28 Depth=1
                                        ; =>  This Inner Loop Header: Depth=2
	s_add_u32 s18, s0, s14
	s_addc_u32 s19, s1, s15
	global_load_ubyte v12, v27, s[18:19]
	s_add_u32 s14, s14, 1
	s_addc_u32 s15, s15, 0
	s_waitcnt vmcnt(0)
	v_and_b32_e32 v26, 0xffff, v12
	v_lshlrev_b64 v[12:13], s12, v[26:27]
	s_add_u32 s12, s12, 8
	s_addc_u32 s13, s13, 0
	v_or_b32_e32 v10, v12, v10
	s_cmp_lg_u32 s16, s14
	v_or_b32_e32 v11, v13, v11
	s_cbranch_scc1 .LBB7_55
	s_branch .LBB7_58
.LBB7_56:                               ;   in Loop: Header=BB7_28 Depth=1
                                        ; implicit-def: $vgpr10_vgpr11
	s_mov_b32 s17, 0
	s_branch .LBB7_59
.LBB7_57:                               ;   in Loop: Header=BB7_28 Depth=1
	v_mov_b64_e32 v[10:11], 0
.LBB7_58:                               ;   in Loop: Header=BB7_28 Depth=1
	s_mov_b64 s[12:13], s[0:1]
	s_mov_b32 s17, 0
	s_cbranch_execnz .LBB7_60
.LBB7_59:                               ;   in Loop: Header=BB7_28 Depth=1
	global_load_dwordx2 v[10:11], v27, s[0:1]
	s_add_i32 s17, s16, -8
.LBB7_60:                               ;   in Loop: Header=BB7_28 Depth=1
	s_add_u32 s0, s12, 8
	s_addc_u32 s1, s13, 0
	s_cmp_gt_u32 s17, 7
	s_cbranch_scc1 .LBB7_64
; %bb.61:                               ;   in Loop: Header=BB7_28 Depth=1
	s_cmp_eq_u32 s17, 0
	s_cbranch_scc1 .LBB7_65
; %bb.62:                               ;   in Loop: Header=BB7_28 Depth=1
	s_mov_b64 s[0:1], 0
	v_mov_b64_e32 v[12:13], 0
	s_mov_b64 s[14:15], 0
.LBB7_63:                               ;   Parent Loop BB7_28 Depth=1
                                        ; =>  This Inner Loop Header: Depth=2
	s_add_u32 s18, s12, s14
	s_addc_u32 s19, s13, s15
	global_load_ubyte v14, v27, s[18:19]
	s_add_u32 s14, s14, 1
	s_addc_u32 s15, s15, 0
	s_waitcnt vmcnt(0)
	v_and_b32_e32 v26, 0xffff, v14
	v_lshlrev_b64 v[14:15], s0, v[26:27]
	s_add_u32 s0, s0, 8
	s_addc_u32 s1, s1, 0
	v_or_b32_e32 v12, v14, v12
	s_cmp_lg_u32 s17, s14
	v_or_b32_e32 v13, v15, v13
	s_cbranch_scc1 .LBB7_63
	s_branch .LBB7_66
.LBB7_64:                               ;   in Loop: Header=BB7_28 Depth=1
	s_mov_b32 s16, 0
	s_branch .LBB7_67
.LBB7_65:                               ;   in Loop: Header=BB7_28 Depth=1
	v_mov_b64_e32 v[12:13], 0
.LBB7_66:                               ;   in Loop: Header=BB7_28 Depth=1
	s_mov_b64 s[0:1], s[12:13]
	s_mov_b32 s16, 0
	s_cbranch_execnz .LBB7_68
.LBB7_67:                               ;   in Loop: Header=BB7_28 Depth=1
	global_load_dwordx2 v[12:13], v27, s[12:13]
	s_add_i32 s16, s17, -8
.LBB7_68:                               ;   in Loop: Header=BB7_28 Depth=1
	s_add_u32 s12, s0, 8
	s_addc_u32 s13, s1, 0
	s_cmp_gt_u32 s16, 7
	s_cbranch_scc1 .LBB7_72
; %bb.69:                               ;   in Loop: Header=BB7_28 Depth=1
	s_cmp_eq_u32 s16, 0
	s_cbranch_scc1 .LBB7_73
; %bb.70:                               ;   in Loop: Header=BB7_28 Depth=1
	s_mov_b64 s[12:13], 0
	v_mov_b64_e32 v[14:15], 0
	s_mov_b64 s[14:15], 0
.LBB7_71:                               ;   Parent Loop BB7_28 Depth=1
                                        ; =>  This Inner Loop Header: Depth=2
	s_add_u32 s18, s0, s14
	s_addc_u32 s19, s1, s15
	global_load_ubyte v16, v27, s[18:19]
	s_add_u32 s14, s14, 1
	s_addc_u32 s15, s15, 0
	s_waitcnt vmcnt(0)
	v_and_b32_e32 v26, 0xffff, v16
	v_lshlrev_b64 v[16:17], s12, v[26:27]
	s_add_u32 s12, s12, 8
	s_addc_u32 s13, s13, 0
	v_or_b32_e32 v14, v16, v14
	s_cmp_lg_u32 s16, s14
	v_or_b32_e32 v15, v17, v15
	s_cbranch_scc1 .LBB7_71
	s_branch .LBB7_74
.LBB7_72:                               ;   in Loop: Header=BB7_28 Depth=1
                                        ; implicit-def: $vgpr14_vgpr15
	s_mov_b32 s17, 0
	s_branch .LBB7_75
.LBB7_73:                               ;   in Loop: Header=BB7_28 Depth=1
	v_mov_b64_e32 v[14:15], 0
.LBB7_74:                               ;   in Loop: Header=BB7_28 Depth=1
	s_mov_b64 s[12:13], s[0:1]
	s_mov_b32 s17, 0
	s_cbranch_execnz .LBB7_76
.LBB7_75:                               ;   in Loop: Header=BB7_28 Depth=1
	global_load_dwordx2 v[14:15], v27, s[0:1]
	s_add_i32 s17, s16, -8
.LBB7_76:                               ;   in Loop: Header=BB7_28 Depth=1
	s_cmp_gt_u32 s17, 7
	s_cbranch_scc1 .LBB7_80
; %bb.77:                               ;   in Loop: Header=BB7_28 Depth=1
	s_cmp_eq_u32 s17, 0
	s_cbranch_scc1 .LBB7_81
; %bb.78:                               ;   in Loop: Header=BB7_28 Depth=1
	s_mov_b64 s[0:1], 0
	v_mov_b64_e32 v[16:17], 0
	s_mov_b64 s[14:15], s[12:13]
.LBB7_79:                               ;   Parent Loop BB7_28 Depth=1
                                        ; =>  This Inner Loop Header: Depth=2
	global_load_ubyte v18, v27, s[14:15]
	s_add_i32 s17, s17, -1
	s_waitcnt vmcnt(0)
	v_and_b32_e32 v26, 0xffff, v18
	v_lshlrev_b64 v[18:19], s0, v[26:27]
	s_add_u32 s0, s0, 8
	s_addc_u32 s1, s1, 0
	s_add_u32 s14, s14, 1
	s_addc_u32 s15, s15, 0
	v_or_b32_e32 v16, v18, v16
	s_cmp_lg_u32 s17, 0
	v_or_b32_e32 v17, v19, v17
	s_cbranch_scc1 .LBB7_79
	s_branch .LBB7_82
.LBB7_80:                               ;   in Loop: Header=BB7_28 Depth=1
	s_branch .LBB7_83
.LBB7_81:                               ;   in Loop: Header=BB7_28 Depth=1
	v_mov_b64_e32 v[16:17], 0
.LBB7_82:                               ;   in Loop: Header=BB7_28 Depth=1
	s_cbranch_execnz .LBB7_84
.LBB7_83:                               ;   in Loop: Header=BB7_28 Depth=1
	global_load_dwordx2 v[16:17], v27, s[12:13]
.LBB7_84:                               ;   in Loop: Header=BB7_28 Depth=1
	v_readfirstlane_b32 s0, v25
	v_mov_b64_e32 v[28:29], 0
	s_nop 0
	v_cmp_eq_u32_e64 s[0:1], s0, v25
	s_and_saveexec_b64 s[12:13], s[0:1]
	s_cbranch_execz .LBB7_90
; %bb.85:                               ;   in Loop: Header=BB7_28 Depth=1
	global_load_dwordx2 v[20:21], v27, s[2:3] offset:24 sc0 sc1
	s_waitcnt vmcnt(0)
	buffer_inv sc0 sc1
	global_load_dwordx2 v[18:19], v27, s[2:3] offset:40
	global_load_dwordx2 v[28:29], v27, s[2:3]
	s_waitcnt vmcnt(1)
	v_and_b32_e32 v18, v18, v20
	v_and_b32_e32 v19, v19, v21
	v_mul_lo_u32 v19, v19, 24
	v_mul_hi_u32 v23, v18, 24
	v_add_u32_e32 v19, v23, v19
	v_mul_lo_u32 v18, v18, 24
	s_waitcnt vmcnt(0)
	v_lshl_add_u64 v[18:19], v[28:29], 0, v[18:19]
	global_load_dwordx2 v[18:19], v[18:19], off sc0 sc1
	s_waitcnt vmcnt(0)
	global_atomic_cmpswap_x2 v[28:29], v27, v[18:21], s[2:3] offset:24 sc0 sc1
	s_waitcnt vmcnt(0)
	buffer_inv sc0 sc1
	v_cmp_ne_u64_e32 vcc, v[28:29], v[20:21]
	s_and_saveexec_b64 s[14:15], vcc
	s_cbranch_execz .LBB7_89
; %bb.86:                               ;   in Loop: Header=BB7_28 Depth=1
	s_mov_b64 s[16:17], 0
.LBB7_87:                               ;   Parent Loop BB7_28 Depth=1
                                        ; =>  This Inner Loop Header: Depth=2
	s_sleep 1
	global_load_dwordx2 v[18:19], v27, s[2:3] offset:40
	global_load_dwordx2 v[30:31], v27, s[2:3]
	v_mov_b64_e32 v[20:21], v[28:29]
	s_waitcnt vmcnt(1)
	v_and_b32_e32 v18, v18, v20
	v_and_b32_e32 v23, v19, v21
	s_waitcnt vmcnt(0)
	v_mad_u64_u32 v[18:19], s[18:19], v18, 24, v[30:31]
	v_mov_b32_e32 v26, v19
	v_mad_u64_u32 v[28:29], s[18:19], v23, 24, v[26:27]
	v_mov_b32_e32 v19, v28
	global_load_dwordx2 v[18:19], v[18:19], off sc0 sc1
	s_waitcnt vmcnt(0)
	global_atomic_cmpswap_x2 v[28:29], v27, v[18:21], s[2:3] offset:24 sc0 sc1
	s_waitcnt vmcnt(0)
	buffer_inv sc0 sc1
	v_cmp_eq_u64_e32 vcc, v[28:29], v[20:21]
	s_or_b64 s[16:17], vcc, s[16:17]
	s_andn2_b64 exec, exec, s[16:17]
	s_cbranch_execnz .LBB7_87
; %bb.88:                               ;   in Loop: Header=BB7_28 Depth=1
	s_or_b64 exec, exec, s[16:17]
.LBB7_89:                               ;   in Loop: Header=BB7_28 Depth=1
	s_or_b64 exec, exec, s[14:15]
.LBB7_90:                               ;   in Loop: Header=BB7_28 Depth=1
	s_or_b64 exec, exec, s[12:13]
	global_load_dwordx2 v[30:31], v27, s[2:3] offset:40
	global_load_dwordx4 v[18:21], v27, s[2:3]
	v_readfirstlane_b32 s13, v29
	v_readfirstlane_b32 s12, v28
	s_mov_b64 s[14:15], exec
	s_waitcnt vmcnt(1)
	v_readfirstlane_b32 s16, v30
	v_readfirstlane_b32 s17, v31
	s_and_b64 s[16:17], s[16:17], s[12:13]
	s_mul_i32 s18, s17, 24
	s_mul_hi_u32 s19, s16, 24
	s_add_i32 s19, s19, s18
	s_mul_i32 s18, s16, 24
	s_waitcnt vmcnt(0)
	v_lshl_add_u64 v[28:29], v[18:19], 0, s[18:19]
	s_and_saveexec_b64 s[18:19], s[0:1]
	s_cbranch_execz .LBB7_92
; %bb.91:                               ;   in Loop: Header=BB7_28 Depth=1
	v_mov_b64_e32 v[30:31], s[14:15]
	global_store_dwordx4 v[28:29], v[30:33], off offset:8
.LBB7_92:                               ;   in Loop: Header=BB7_28 Depth=1
	s_or_b64 exec, exec, s[18:19]
	s_lshl_b64 s[14:15], s[16:17], 12
	v_lshl_add_u64 v[20:21], v[20:21], 0, s[14:15]
	v_cmp_lt_u64_e64 vcc, s[6:7], 57
	s_lshl_b32 s14, s10, 2
	s_add_i32 s14, s14, 28
	v_cndmask_b32_e32 v23, 0, v24, vcc
	v_and_b32_e32 v0, 0xffffff1f, v0
	s_and_b32 s14, s14, 0x1e0
	v_or_b32_e32 v0, v0, v23
	v_or_b32_e32 v0, s14, v0
	v_readfirstlane_b32 s14, v20
	v_readfirstlane_b32 s15, v21
	s_nop 4
	global_store_dwordx4 v22, v[0:3], s[14:15]
	global_store_dwordx4 v22, v[6:9], s[14:15] offset:16
	global_store_dwordx4 v22, v[10:13], s[14:15] offset:32
	;; [unrolled: 1-line block ×3, first 2 shown]
	s_and_saveexec_b64 s[14:15], s[0:1]
	s_cbranch_execz .LBB7_100
; %bb.93:                               ;   in Loop: Header=BB7_28 Depth=1
	global_load_dwordx2 v[10:11], v27, s[2:3] offset:32 sc0 sc1
	global_load_dwordx2 v[0:1], v27, s[2:3] offset:40
	v_mov_b32_e32 v8, s12
	v_mov_b32_e32 v9, s13
	s_waitcnt vmcnt(0)
	v_readfirstlane_b32 s16, v0
	v_readfirstlane_b32 s17, v1
	s_and_b64 s[16:17], s[16:17], s[12:13]
	s_mul_i32 s17, s17, 24
	s_mul_hi_u32 s18, s16, 24
	s_mul_i32 s16, s16, 24
	s_add_i32 s17, s18, s17
	v_lshl_add_u64 v[6:7], v[18:19], 0, s[16:17]
	global_store_dwordx2 v[6:7], v[10:11], off
	buffer_wbl2 sc0 sc1
	s_waitcnt vmcnt(0)
	global_atomic_cmpswap_x2 v[2:3], v27, v[8:11], s[2:3] offset:32 sc0 sc1
	s_waitcnt vmcnt(0)
	v_cmp_ne_u64_e32 vcc, v[2:3], v[10:11]
	s_and_saveexec_b64 s[16:17], vcc
	s_cbranch_execz .LBB7_96
; %bb.94:                               ;   in Loop: Header=BB7_28 Depth=1
	s_mov_b64 s[18:19], 0
.LBB7_95:                               ;   Parent Loop BB7_28 Depth=1
                                        ; =>  This Inner Loop Header: Depth=2
	s_sleep 1
	global_store_dwordx2 v[6:7], v[2:3], off
	v_mov_b32_e32 v0, s12
	v_mov_b32_e32 v1, s13
	buffer_wbl2 sc0 sc1
	s_waitcnt vmcnt(0)
	global_atomic_cmpswap_x2 v[0:1], v27, v[0:3], s[2:3] offset:32 sc0 sc1
	s_waitcnt vmcnt(0)
	v_cmp_eq_u64_e32 vcc, v[0:1], v[2:3]
	s_or_b64 s[18:19], vcc, s[18:19]
	v_mov_b64_e32 v[2:3], v[0:1]
	s_andn2_b64 exec, exec, s[18:19]
	s_cbranch_execnz .LBB7_95
.LBB7_96:                               ;   in Loop: Header=BB7_28 Depth=1
	s_or_b64 exec, exec, s[16:17]
	global_load_dwordx2 v[0:1], v27, s[2:3] offset:16
	s_mov_b64 s[18:19], exec
	v_mbcnt_lo_u32_b32 v2, s18, 0
	v_mbcnt_hi_u32_b32 v2, s19, v2
	v_cmp_eq_u32_e32 vcc, 0, v2
	s_and_saveexec_b64 s[16:17], vcc
	s_cbranch_execz .LBB7_98
; %bb.97:                               ;   in Loop: Header=BB7_28 Depth=1
	s_bcnt1_i32_b64 s18, s[18:19]
	v_mov_b32_e32 v26, s18
	buffer_wbl2 sc0 sc1
	s_waitcnt vmcnt(0)
	global_atomic_add_x2 v[0:1], v[26:27], off offset:8 sc1
.LBB7_98:                               ;   in Loop: Header=BB7_28 Depth=1
	s_or_b64 exec, exec, s[16:17]
	s_waitcnt vmcnt(0)
	global_load_dwordx2 v[2:3], v[0:1], off offset:16
	s_waitcnt vmcnt(0)
	v_cmp_eq_u64_e32 vcc, 0, v[2:3]
	s_cbranch_vccnz .LBB7_100
; %bb.99:                               ;   in Loop: Header=BB7_28 Depth=1
	global_load_dword v26, v[0:1], off offset:24
	s_waitcnt vmcnt(0)
	v_readfirstlane_b32 s16, v26
	s_and_b32 m0, s16, 0xffffff
	buffer_wbl2 sc0 sc1
	global_store_dwordx2 v[2:3], v[26:27], off sc0 sc1
	s_sendmsg sendmsg(MSG_INTERRUPT)
.LBB7_100:                              ;   in Loop: Header=BB7_28 Depth=1
	s_or_b64 exec, exec, s[14:15]
	v_mov_b32_e32 v23, v27
	v_lshl_add_u64 v[0:1], v[20:21], 0, v[22:23]
	s_branch .LBB7_104
.LBB7_101:                              ;   in Loop: Header=BB7_104 Depth=2
	s_or_b64 exec, exec, s[14:15]
	v_readfirstlane_b32 s14, v2
	s_cmp_eq_u32 s14, 0
	s_cbranch_scc1 .LBB7_103
; %bb.102:                              ;   in Loop: Header=BB7_104 Depth=2
	s_sleep 1
	s_cbranch_execnz .LBB7_104
	s_branch .LBB7_106
.LBB7_103:                              ;   in Loop: Header=BB7_28 Depth=1
	s_branch .LBB7_106
.LBB7_104:                              ;   Parent Loop BB7_28 Depth=1
                                        ; =>  This Inner Loop Header: Depth=2
	v_mov_b32_e32 v2, 1
	s_and_saveexec_b64 s[14:15], s[0:1]
	s_cbranch_execz .LBB7_101
; %bb.105:                              ;   in Loop: Header=BB7_104 Depth=2
	global_load_dword v2, v[28:29], off offset:20 sc0 sc1
	s_waitcnt vmcnt(0)
	buffer_inv sc0 sc1
	v_and_b32_e32 v2, 1, v2
	s_branch .LBB7_101
.LBB7_106:                              ;   in Loop: Header=BB7_28 Depth=1
	global_load_dwordx2 v[0:1], v[0:1], off
	s_and_saveexec_b64 s[14:15], s[0:1]
	s_cbranch_execz .LBB7_27
; %bb.107:                              ;   in Loop: Header=BB7_28 Depth=1
	global_load_dwordx2 v[2:3], v27, s[2:3] offset:40
	global_load_dwordx2 v[10:11], v27, s[2:3] offset:24 sc0 sc1
	global_load_dwordx2 v[6:7], v27, s[2:3]
	s_waitcnt vmcnt(2)
	v_readfirstlane_b32 s16, v2
	v_readfirstlane_b32 s17, v3
	s_add_u32 s18, s16, 1
	s_addc_u32 s19, s17, 0
	s_add_u32 s0, s18, s12
	s_addc_u32 s1, s19, s13
	s_cmp_eq_u64 s[0:1], 0
	s_cselect_b32 s1, s19, s1
	s_cselect_b32 s0, s18, s0
	s_and_b64 s[12:13], s[0:1], s[16:17]
	s_mul_i32 s13, s13, 24
	s_mul_hi_u32 s16, s12, 24
	s_mul_i32 s12, s12, 24
	s_add_i32 s13, s16, s13
	s_waitcnt vmcnt(0)
	v_lshl_add_u64 v[2:3], v[6:7], 0, s[12:13]
	v_mov_b32_e32 v8, s0
	global_store_dwordx2 v[2:3], v[10:11], off
	v_mov_b32_e32 v9, s1
	buffer_wbl2 sc0 sc1
	s_waitcnt vmcnt(0)
	global_atomic_cmpswap_x2 v[8:9], v27, v[8:11], s[2:3] offset:24 sc0 sc1
	s_waitcnt vmcnt(0)
	v_cmp_ne_u64_e32 vcc, v[8:9], v[10:11]
	s_and_b64 exec, exec, vcc
	s_cbranch_execz .LBB7_27
; %bb.108:                              ;   in Loop: Header=BB7_28 Depth=1
	s_mov_b64 s[12:13], 0
.LBB7_109:                              ;   Parent Loop BB7_28 Depth=1
                                        ; =>  This Inner Loop Header: Depth=2
	s_sleep 1
	global_store_dwordx2 v[2:3], v[8:9], off
	v_mov_b32_e32 v6, s0
	v_mov_b32_e32 v7, s1
	buffer_wbl2 sc0 sc1
	s_waitcnt vmcnt(0)
	global_atomic_cmpswap_x2 v[6:7], v27, v[6:9], s[2:3] offset:24 sc0 sc1
	s_waitcnt vmcnt(0)
	v_cmp_eq_u64_e32 vcc, v[6:7], v[8:9]
	s_or_b64 s[12:13], vcc, s[12:13]
	v_mov_b64_e32 v[8:9], v[6:7]
	s_andn2_b64 exec, exec, s[12:13]
	s_cbranch_execnz .LBB7_109
	s_branch .LBB7_27
.LBB7_110:
                                        ; implicit-def: $vgpr0_vgpr1
	s_cbranch_execnz .LBB7_112
	s_branch .LBB7_138
.LBB7_111:
	s_branch .LBB7_138
.LBB7_112:
	v_readfirstlane_b32 s0, v25
	v_mov_b64_e32 v[6:7], 0
	s_nop 0
	v_cmp_eq_u32_e64 s[0:1], s0, v25
	s_and_saveexec_b64 s[4:5], s[0:1]
	s_cbranch_execz .LBB7_118
; %bb.113:
	s_waitcnt vmcnt(0)
	v_mov_b32_e32 v0, 0
	global_load_dwordx2 v[8:9], v0, s[2:3] offset:24 sc0 sc1
	s_waitcnt vmcnt(0)
	buffer_inv sc0 sc1
	global_load_dwordx2 v[2:3], v0, s[2:3] offset:40
	global_load_dwordx2 v[6:7], v0, s[2:3]
	s_waitcnt vmcnt(1)
	v_and_b32_e32 v1, v2, v8
	v_and_b32_e32 v2, v3, v9
	v_mul_lo_u32 v2, v2, 24
	v_mul_hi_u32 v3, v1, 24
	v_add_u32_e32 v3, v3, v2
	v_mul_lo_u32 v2, v1, 24
	s_waitcnt vmcnt(0)
	v_lshl_add_u64 v[2:3], v[6:7], 0, v[2:3]
	global_load_dwordx2 v[6:7], v[2:3], off sc0 sc1
	s_waitcnt vmcnt(0)
	global_atomic_cmpswap_x2 v[6:7], v0, v[6:9], s[2:3] offset:24 sc0 sc1
	s_waitcnt vmcnt(0)
	buffer_inv sc0 sc1
	v_cmp_ne_u64_e32 vcc, v[6:7], v[8:9]
	s_and_saveexec_b64 s[6:7], vcc
	s_cbranch_execz .LBB7_117
; %bb.114:
	s_mov_b64 s[10:11], 0
.LBB7_115:                              ; =>This Inner Loop Header: Depth=1
	s_sleep 1
	global_load_dwordx2 v[2:3], v0, s[2:3] offset:40
	global_load_dwordx2 v[10:11], v0, s[2:3]
	v_mov_b64_e32 v[8:9], v[6:7]
	s_waitcnt vmcnt(1)
	v_and_b32_e32 v2, v2, v8
	v_and_b32_e32 v1, v3, v9
	s_waitcnt vmcnt(0)
	v_mad_u64_u32 v[2:3], s[12:13], v2, 24, v[10:11]
	v_mov_b32_e32 v6, v3
	v_mad_u64_u32 v[6:7], s[12:13], v1, 24, v[6:7]
	v_mov_b32_e32 v3, v6
	global_load_dwordx2 v[6:7], v[2:3], off sc0 sc1
	s_waitcnt vmcnt(0)
	global_atomic_cmpswap_x2 v[6:7], v0, v[6:9], s[2:3] offset:24 sc0 sc1
	s_waitcnt vmcnt(0)
	buffer_inv sc0 sc1
	v_cmp_eq_u64_e32 vcc, v[6:7], v[8:9]
	s_or_b64 s[10:11], vcc, s[10:11]
	s_andn2_b64 exec, exec, s[10:11]
	s_cbranch_execnz .LBB7_115
; %bb.116:
	s_or_b64 exec, exec, s[10:11]
.LBB7_117:
	s_or_b64 exec, exec, s[6:7]
.LBB7_118:
	s_or_b64 exec, exec, s[4:5]
	v_mov_b32_e32 v23, 0
	global_load_dwordx2 v[8:9], v23, s[2:3] offset:40
	global_load_dwordx4 v[0:3], v23, s[2:3]
	v_readfirstlane_b32 s5, v7
	v_readfirstlane_b32 s4, v6
	s_mov_b64 s[6:7], exec
	s_waitcnt vmcnt(1)
	v_readfirstlane_b32 s10, v8
	v_readfirstlane_b32 s11, v9
	s_and_b64 s[10:11], s[10:11], s[4:5]
	s_mul_i32 s12, s11, 24
	s_mul_hi_u32 s13, s10, 24
	s_add_i32 s13, s13, s12
	s_mul_i32 s12, s10, 24
	s_waitcnt vmcnt(0)
	v_lshl_add_u64 v[8:9], v[0:1], 0, s[12:13]
	s_and_saveexec_b64 s[12:13], s[0:1]
	s_cbranch_execz .LBB7_120
; %bb.119:
	v_mov_b64_e32 v[10:11], s[6:7]
	v_mov_b32_e32 v12, 2
	v_mov_b32_e32 v13, 1
	global_store_dwordx4 v[8:9], v[10:13], off offset:8
.LBB7_120:
	s_or_b64 exec, exec, s[12:13]
	s_lshl_b64 s[6:7], s[10:11], 12
	v_lshl_add_u64 v[10:11], v[2:3], 0, s[6:7]
	s_movk_i32 s6, 0xff1f
	s_mov_b32 s12, 0
	v_and_or_b32 v4, v4, s6, 32
	v_mov_b32_e32 v6, v23
	v_mov_b32_e32 v7, v23
	v_readfirstlane_b32 s6, v10
	v_readfirstlane_b32 s7, v11
	s_mov_b32 s13, s12
	s_mov_b32 s14, s12
	;; [unrolled: 1-line block ×3, first 2 shown]
	s_nop 1
	global_store_dwordx4 v22, v[4:7], s[6:7]
	v_mov_b64_e32 v[2:3], s[12:13]
	s_nop 0
	v_mov_b64_e32 v[4:5], s[14:15]
	global_store_dwordx4 v22, v[2:5], s[6:7] offset:16
	global_store_dwordx4 v22, v[2:5], s[6:7] offset:32
	;; [unrolled: 1-line block ×3, first 2 shown]
	s_and_saveexec_b64 s[6:7], s[0:1]
	s_cbranch_execz .LBB7_128
; %bb.121:
	v_mov_b32_e32 v6, 0
	global_load_dwordx2 v[14:15], v6, s[2:3] offset:32 sc0 sc1
	global_load_dwordx2 v[2:3], v6, s[2:3] offset:40
	v_mov_b32_e32 v12, s4
	v_mov_b32_e32 v13, s5
	s_waitcnt vmcnt(0)
	v_readfirstlane_b32 s10, v2
	v_readfirstlane_b32 s11, v3
	s_and_b64 s[10:11], s[10:11], s[4:5]
	s_mul_i32 s11, s11, 24
	s_mul_hi_u32 s12, s10, 24
	s_mul_i32 s10, s10, 24
	s_add_i32 s11, s12, s11
	v_lshl_add_u64 v[4:5], v[0:1], 0, s[10:11]
	global_store_dwordx2 v[4:5], v[14:15], off
	buffer_wbl2 sc0 sc1
	s_waitcnt vmcnt(0)
	global_atomic_cmpswap_x2 v[2:3], v6, v[12:15], s[2:3] offset:32 sc0 sc1
	s_waitcnt vmcnt(0)
	v_cmp_ne_u64_e32 vcc, v[2:3], v[14:15]
	s_and_saveexec_b64 s[10:11], vcc
	s_cbranch_execz .LBB7_124
; %bb.122:
	s_mov_b64 s[12:13], 0
.LBB7_123:                              ; =>This Inner Loop Header: Depth=1
	s_sleep 1
	global_store_dwordx2 v[4:5], v[2:3], off
	v_mov_b32_e32 v0, s4
	v_mov_b32_e32 v1, s5
	buffer_wbl2 sc0 sc1
	s_waitcnt vmcnt(0)
	global_atomic_cmpswap_x2 v[0:1], v6, v[0:3], s[2:3] offset:32 sc0 sc1
	s_waitcnt vmcnt(0)
	v_cmp_eq_u64_e32 vcc, v[0:1], v[2:3]
	s_or_b64 s[12:13], vcc, s[12:13]
	v_mov_b64_e32 v[2:3], v[0:1]
	s_andn2_b64 exec, exec, s[12:13]
	s_cbranch_execnz .LBB7_123
.LBB7_124:
	s_or_b64 exec, exec, s[10:11]
	v_mov_b32_e32 v3, 0
	global_load_dwordx2 v[0:1], v3, s[2:3] offset:16
	s_mov_b64 s[10:11], exec
	v_mbcnt_lo_u32_b32 v2, s10, 0
	v_mbcnt_hi_u32_b32 v2, s11, v2
	v_cmp_eq_u32_e32 vcc, 0, v2
	s_and_saveexec_b64 s[12:13], vcc
	s_cbranch_execz .LBB7_126
; %bb.125:
	s_bcnt1_i32_b64 s10, s[10:11]
	v_mov_b32_e32 v2, s10
	buffer_wbl2 sc0 sc1
	s_waitcnt vmcnt(0)
	global_atomic_add_x2 v[0:1], v[2:3], off offset:8 sc1
.LBB7_126:
	s_or_b64 exec, exec, s[12:13]
	s_waitcnt vmcnt(0)
	global_load_dwordx2 v[2:3], v[0:1], off offset:16
	s_waitcnt vmcnt(0)
	v_cmp_eq_u64_e32 vcc, 0, v[2:3]
	s_cbranch_vccnz .LBB7_128
; %bb.127:
	global_load_dword v0, v[0:1], off offset:24
	v_mov_b32_e32 v1, 0
	s_waitcnt vmcnt(0)
	v_readfirstlane_b32 s10, v0
	s_and_b32 m0, s10, 0xffffff
	buffer_wbl2 sc0 sc1
	global_store_dwordx2 v[2:3], v[0:1], off sc0 sc1
	s_sendmsg sendmsg(MSG_INTERRUPT)
.LBB7_128:
	s_or_b64 exec, exec, s[6:7]
	v_lshl_add_u64 v[0:1], v[10:11], 0, v[22:23]
	s_branch .LBB7_132
.LBB7_129:                              ;   in Loop: Header=BB7_132 Depth=1
	s_or_b64 exec, exec, s[6:7]
	v_readfirstlane_b32 s6, v2
	s_cmp_eq_u32 s6, 0
	s_cbranch_scc1 .LBB7_131
; %bb.130:                              ;   in Loop: Header=BB7_132 Depth=1
	s_sleep 1
	s_cbranch_execnz .LBB7_132
	s_branch .LBB7_134
.LBB7_131:
	s_branch .LBB7_134
.LBB7_132:                              ; =>This Inner Loop Header: Depth=1
	v_mov_b32_e32 v2, 1
	s_and_saveexec_b64 s[6:7], s[0:1]
	s_cbranch_execz .LBB7_129
; %bb.133:                              ;   in Loop: Header=BB7_132 Depth=1
	global_load_dword v2, v[8:9], off offset:20 sc0 sc1
	s_waitcnt vmcnt(0)
	buffer_inv sc0 sc1
	v_and_b32_e32 v2, 1, v2
	s_branch .LBB7_129
.LBB7_134:
	global_load_dwordx2 v[0:1], v[0:1], off
	s_and_saveexec_b64 s[6:7], s[0:1]
	s_cbranch_execz .LBB7_137
; %bb.135:
	v_mov_b32_e32 v8, 0
	global_load_dwordx2 v[2:3], v8, s[2:3] offset:40
	global_load_dwordx2 v[12:13], v8, s[2:3] offset:24 sc0 sc1
	global_load_dwordx2 v[4:5], v8, s[2:3]
	s_waitcnt vmcnt(2)
	v_readfirstlane_b32 s10, v2
	v_readfirstlane_b32 s11, v3
	s_add_u32 s12, s10, 1
	s_addc_u32 s13, s11, 0
	s_add_u32 s0, s12, s4
	s_addc_u32 s1, s13, s5
	s_cmp_eq_u64 s[0:1], 0
	s_cselect_b32 s1, s13, s1
	s_cselect_b32 s0, s12, s0
	s_and_b64 s[4:5], s[0:1], s[10:11]
	s_mul_i32 s5, s5, 24
	s_mul_hi_u32 s10, s4, 24
	s_mul_i32 s4, s4, 24
	s_add_i32 s5, s10, s5
	s_waitcnt vmcnt(0)
	v_lshl_add_u64 v[6:7], v[4:5], 0, s[4:5]
	v_mov_b32_e32 v10, s0
	global_store_dwordx2 v[6:7], v[12:13], off
	v_mov_b32_e32 v11, s1
	buffer_wbl2 sc0 sc1
	s_waitcnt vmcnt(0)
	global_atomic_cmpswap_x2 v[4:5], v8, v[10:13], s[2:3] offset:24 sc0 sc1
	s_mov_b64 s[4:5], 0
	s_waitcnt vmcnt(0)
	v_cmp_ne_u64_e32 vcc, v[4:5], v[12:13]
	s_and_b64 exec, exec, vcc
	s_cbranch_execz .LBB7_137
.LBB7_136:                              ; =>This Inner Loop Header: Depth=1
	s_sleep 1
	global_store_dwordx2 v[6:7], v[4:5], off
	v_mov_b32_e32 v2, s0
	v_mov_b32_e32 v3, s1
	buffer_wbl2 sc0 sc1
	s_waitcnt vmcnt(0)
	global_atomic_cmpswap_x2 v[2:3], v8, v[2:5], s[2:3] offset:24 sc0 sc1
	s_waitcnt vmcnt(0)
	v_cmp_eq_u64_e32 vcc, v[2:3], v[4:5]
	s_or_b64 s[4:5], vcc, s[4:5]
	v_mov_b64_e32 v[4:5], v[2:3]
	s_andn2_b64 exec, exec, s[4:5]
	s_cbranch_execnz .LBB7_136
.LBB7_137:
	s_or_b64 exec, exec, s[6:7]
.LBB7_138:
	s_getpc_b64 s[4:5]
	s_add_u32 s4, s4, .str.3@rel32@lo+4
	s_addc_u32 s5, s5, .str.3@rel32@hi+12
	s_cmp_lg_u64 s[4:5], 0
	s_cselect_b64 s[0:1], -1, 0
	s_cmp_eq_u64 s[4:5], 0
	s_mov_b64 s[4:5], 0
	s_cbranch_scc1 .LBB7_142
; %bb.139:
	v_mov_b32_e32 v2, 0
	s_getpc_b64 s[4:5]
	s_add_u32 s4, s4, .str.3@rel32@lo+3
	s_addc_u32 s5, s5, .str.3@rel32@hi+11
.LBB7_140:                              ; =>This Inner Loop Header: Depth=1
	global_load_ubyte v3, v2, s[4:5] offset:1
	s_add_u32 s6, s4, 1
	s_addc_u32 s7, s5, 0
	s_mov_b64 s[4:5], s[6:7]
	s_waitcnt vmcnt(0)
	v_cmp_ne_u32_e32 vcc, 0, v3
	s_cbranch_vccnz .LBB7_140
; %bb.141:
	s_getpc_b64 s[4:5]
	s_add_u32 s4, s4, .str.3@rel32@lo+4
	s_addc_u32 s5, s5, .str.3@rel32@hi+12
	s_sub_u32 s4, s6, s4
	s_subb_u32 s5, s7, s5
	s_add_u32 s4, s4, 1
	s_addc_u32 s5, s5, 0
.LBB7_142:
	s_and_b64 vcc, exec, s[0:1]
	s_cbranch_vccz .LBB7_227
; %bb.143:
	s_waitcnt vmcnt(0)
	v_and_b32_e32 v24, 2, v0
	v_mov_b32_e32 v27, 0
	v_and_b32_e32 v2, -3, v0
	v_mov_b32_e32 v3, v1
	v_mov_b32_e32 v32, 2
	;; [unrolled: 1-line block ×3, first 2 shown]
	s_getpc_b64 s[6:7]
	s_add_u32 s6, s6, .str.3@rel32@lo+4
	s_addc_u32 s7, s7, .str.3@rel32@hi+12
	s_branch .LBB7_145
.LBB7_144:                              ;   in Loop: Header=BB7_145 Depth=1
	s_or_b64 exec, exec, s[14:15]
	s_sub_u32 s4, s4, s10
	s_subb_u32 s5, s5, s11
	s_add_u32 s6, s6, s10
	s_addc_u32 s7, s7, s11
	s_cmp_lg_u64 s[4:5], 0
	s_cbranch_scc0 .LBB7_228
.LBB7_145:                              ; =>This Loop Header: Depth=1
                                        ;     Child Loop BB7_148 Depth 2
                                        ;     Child Loop BB7_156 Depth 2
	;; [unrolled: 1-line block ×11, first 2 shown]
	v_cmp_lt_u64_e64 s[0:1], s[4:5], 56
	s_and_b64 s[0:1], s[0:1], exec
	s_cselect_b32 s11, s5, 0
	s_cselect_b32 s10, s4, 56
	v_cmp_gt_u64_e64 s[12:13], s[4:5], 7
	s_add_u32 s0, s6, 8
	s_addc_u32 s1, s7, 0
	s_and_b64 vcc, exec, s[12:13]
	s_cbranch_vccnz .LBB7_149
; %bb.146:                              ;   in Loop: Header=BB7_145 Depth=1
	s_cmp_eq_u64 s[4:5], 0
	s_cbranch_scc1 .LBB7_150
; %bb.147:                              ;   in Loop: Header=BB7_145 Depth=1
	s_lshl_b64 s[0:1], s[10:11], 3
	s_mov_b64 s[12:13], 0
	v_mov_b64_e32 v[4:5], 0
	s_mov_b64 s[14:15], s[6:7]
.LBB7_148:                              ;   Parent Loop BB7_145 Depth=1
                                        ; =>  This Inner Loop Header: Depth=2
	global_load_ubyte v6, v27, s[14:15]
	s_waitcnt vmcnt(0)
	v_and_b32_e32 v26, 0xffff, v6
	v_lshlrev_b64 v[6:7], s12, v[26:27]
	s_add_u32 s12, s12, 8
	s_addc_u32 s13, s13, 0
	s_add_u32 s14, s14, 1
	s_addc_u32 s15, s15, 0
	v_or_b32_e32 v4, v6, v4
	s_cmp_lg_u32 s0, s12
	v_or_b32_e32 v5, v7, v5
	s_cbranch_scc1 .LBB7_148
	s_branch .LBB7_151
.LBB7_149:                              ;   in Loop: Header=BB7_145 Depth=1
	s_mov_b32 s16, 0
	s_branch .LBB7_152
.LBB7_150:                              ;   in Loop: Header=BB7_145 Depth=1
	v_mov_b64_e32 v[4:5], 0
.LBB7_151:                              ;   in Loop: Header=BB7_145 Depth=1
	s_mov_b64 s[0:1], s[6:7]
	s_mov_b32 s16, 0
	s_cbranch_execnz .LBB7_153
.LBB7_152:                              ;   in Loop: Header=BB7_145 Depth=1
	global_load_dwordx2 v[4:5], v27, s[6:7]
	s_add_i32 s16, s10, -8
.LBB7_153:                              ;   in Loop: Header=BB7_145 Depth=1
	s_add_u32 s12, s0, 8
	s_addc_u32 s13, s1, 0
	s_cmp_gt_u32 s16, 7
	s_cbranch_scc1 .LBB7_157
; %bb.154:                              ;   in Loop: Header=BB7_145 Depth=1
	s_cmp_eq_u32 s16, 0
	s_cbranch_scc1 .LBB7_158
; %bb.155:                              ;   in Loop: Header=BB7_145 Depth=1
	s_mov_b64 s[12:13], 0
	v_mov_b64_e32 v[6:7], 0
	s_mov_b64 s[14:15], 0
.LBB7_156:                              ;   Parent Loop BB7_145 Depth=1
                                        ; =>  This Inner Loop Header: Depth=2
	s_add_u32 s18, s0, s14
	s_addc_u32 s19, s1, s15
	global_load_ubyte v8, v27, s[18:19]
	s_add_u32 s14, s14, 1
	s_addc_u32 s15, s15, 0
	s_waitcnt vmcnt(0)
	v_and_b32_e32 v26, 0xffff, v8
	v_lshlrev_b64 v[8:9], s12, v[26:27]
	s_add_u32 s12, s12, 8
	s_addc_u32 s13, s13, 0
	v_or_b32_e32 v6, v8, v6
	s_cmp_lg_u32 s16, s14
	v_or_b32_e32 v7, v9, v7
	s_cbranch_scc1 .LBB7_156
	s_branch .LBB7_159
.LBB7_157:                              ;   in Loop: Header=BB7_145 Depth=1
                                        ; implicit-def: $vgpr6_vgpr7
	s_mov_b32 s17, 0
	s_branch .LBB7_160
.LBB7_158:                              ;   in Loop: Header=BB7_145 Depth=1
	v_mov_b64_e32 v[6:7], 0
.LBB7_159:                              ;   in Loop: Header=BB7_145 Depth=1
	s_mov_b64 s[12:13], s[0:1]
	s_mov_b32 s17, 0
	s_cbranch_execnz .LBB7_161
.LBB7_160:                              ;   in Loop: Header=BB7_145 Depth=1
	global_load_dwordx2 v[6:7], v27, s[0:1]
	s_add_i32 s17, s16, -8
.LBB7_161:                              ;   in Loop: Header=BB7_145 Depth=1
	s_add_u32 s0, s12, 8
	s_addc_u32 s1, s13, 0
	s_cmp_gt_u32 s17, 7
	s_cbranch_scc1 .LBB7_165
; %bb.162:                              ;   in Loop: Header=BB7_145 Depth=1
	s_cmp_eq_u32 s17, 0
	s_cbranch_scc1 .LBB7_166
; %bb.163:                              ;   in Loop: Header=BB7_145 Depth=1
	s_mov_b64 s[0:1], 0
	v_mov_b64_e32 v[8:9], 0
	s_mov_b64 s[14:15], 0
.LBB7_164:                              ;   Parent Loop BB7_145 Depth=1
                                        ; =>  This Inner Loop Header: Depth=2
	s_add_u32 s18, s12, s14
	s_addc_u32 s19, s13, s15
	global_load_ubyte v10, v27, s[18:19]
	s_add_u32 s14, s14, 1
	s_addc_u32 s15, s15, 0
	s_waitcnt vmcnt(0)
	v_and_b32_e32 v26, 0xffff, v10
	v_lshlrev_b64 v[10:11], s0, v[26:27]
	s_add_u32 s0, s0, 8
	s_addc_u32 s1, s1, 0
	v_or_b32_e32 v8, v10, v8
	s_cmp_lg_u32 s17, s14
	v_or_b32_e32 v9, v11, v9
	s_cbranch_scc1 .LBB7_164
	s_branch .LBB7_167
.LBB7_165:                              ;   in Loop: Header=BB7_145 Depth=1
	s_mov_b32 s16, 0
	s_branch .LBB7_168
.LBB7_166:                              ;   in Loop: Header=BB7_145 Depth=1
	v_mov_b64_e32 v[8:9], 0
.LBB7_167:                              ;   in Loop: Header=BB7_145 Depth=1
	s_mov_b64 s[0:1], s[12:13]
	s_mov_b32 s16, 0
	s_cbranch_execnz .LBB7_169
.LBB7_168:                              ;   in Loop: Header=BB7_145 Depth=1
	global_load_dwordx2 v[8:9], v27, s[12:13]
	s_add_i32 s16, s17, -8
.LBB7_169:                              ;   in Loop: Header=BB7_145 Depth=1
	s_add_u32 s12, s0, 8
	s_addc_u32 s13, s1, 0
	s_cmp_gt_u32 s16, 7
	s_cbranch_scc1 .LBB7_173
; %bb.170:                              ;   in Loop: Header=BB7_145 Depth=1
	s_cmp_eq_u32 s16, 0
	s_cbranch_scc1 .LBB7_174
; %bb.171:                              ;   in Loop: Header=BB7_145 Depth=1
	s_mov_b64 s[12:13], 0
	v_mov_b64_e32 v[10:11], 0
	s_mov_b64 s[14:15], 0
.LBB7_172:                              ;   Parent Loop BB7_145 Depth=1
                                        ; =>  This Inner Loop Header: Depth=2
	s_add_u32 s18, s0, s14
	s_addc_u32 s19, s1, s15
	global_load_ubyte v12, v27, s[18:19]
	s_add_u32 s14, s14, 1
	s_addc_u32 s15, s15, 0
	s_waitcnt vmcnt(0)
	v_and_b32_e32 v26, 0xffff, v12
	v_lshlrev_b64 v[12:13], s12, v[26:27]
	s_add_u32 s12, s12, 8
	s_addc_u32 s13, s13, 0
	v_or_b32_e32 v10, v12, v10
	s_cmp_lg_u32 s16, s14
	v_or_b32_e32 v11, v13, v11
	s_cbranch_scc1 .LBB7_172
	s_branch .LBB7_175
.LBB7_173:                              ;   in Loop: Header=BB7_145 Depth=1
                                        ; implicit-def: $vgpr10_vgpr11
	s_mov_b32 s17, 0
	s_branch .LBB7_176
.LBB7_174:                              ;   in Loop: Header=BB7_145 Depth=1
	v_mov_b64_e32 v[10:11], 0
.LBB7_175:                              ;   in Loop: Header=BB7_145 Depth=1
	s_mov_b64 s[12:13], s[0:1]
	s_mov_b32 s17, 0
	s_cbranch_execnz .LBB7_177
.LBB7_176:                              ;   in Loop: Header=BB7_145 Depth=1
	global_load_dwordx2 v[10:11], v27, s[0:1]
	s_add_i32 s17, s16, -8
.LBB7_177:                              ;   in Loop: Header=BB7_145 Depth=1
	s_add_u32 s0, s12, 8
	s_addc_u32 s1, s13, 0
	s_cmp_gt_u32 s17, 7
	s_cbranch_scc1 .LBB7_181
; %bb.178:                              ;   in Loop: Header=BB7_145 Depth=1
	s_cmp_eq_u32 s17, 0
	s_cbranch_scc1 .LBB7_182
; %bb.179:                              ;   in Loop: Header=BB7_145 Depth=1
	s_mov_b64 s[0:1], 0
	v_mov_b64_e32 v[12:13], 0
	s_mov_b64 s[14:15], 0
.LBB7_180:                              ;   Parent Loop BB7_145 Depth=1
                                        ; =>  This Inner Loop Header: Depth=2
	s_add_u32 s18, s12, s14
	s_addc_u32 s19, s13, s15
	global_load_ubyte v14, v27, s[18:19]
	s_add_u32 s14, s14, 1
	s_addc_u32 s15, s15, 0
	s_waitcnt vmcnt(0)
	v_and_b32_e32 v26, 0xffff, v14
	v_lshlrev_b64 v[14:15], s0, v[26:27]
	s_add_u32 s0, s0, 8
	s_addc_u32 s1, s1, 0
	v_or_b32_e32 v12, v14, v12
	s_cmp_lg_u32 s17, s14
	v_or_b32_e32 v13, v15, v13
	s_cbranch_scc1 .LBB7_180
	s_branch .LBB7_183
.LBB7_181:                              ;   in Loop: Header=BB7_145 Depth=1
	s_mov_b32 s16, 0
	s_branch .LBB7_184
.LBB7_182:                              ;   in Loop: Header=BB7_145 Depth=1
	v_mov_b64_e32 v[12:13], 0
.LBB7_183:                              ;   in Loop: Header=BB7_145 Depth=1
	s_mov_b64 s[0:1], s[12:13]
	s_mov_b32 s16, 0
	s_cbranch_execnz .LBB7_185
.LBB7_184:                              ;   in Loop: Header=BB7_145 Depth=1
	global_load_dwordx2 v[12:13], v27, s[12:13]
	s_add_i32 s16, s17, -8
.LBB7_185:                              ;   in Loop: Header=BB7_145 Depth=1
	s_add_u32 s12, s0, 8
	s_addc_u32 s13, s1, 0
	s_cmp_gt_u32 s16, 7
	s_cbranch_scc1 .LBB7_189
; %bb.186:                              ;   in Loop: Header=BB7_145 Depth=1
	s_cmp_eq_u32 s16, 0
	s_cbranch_scc1 .LBB7_190
; %bb.187:                              ;   in Loop: Header=BB7_145 Depth=1
	s_mov_b64 s[12:13], 0
	v_mov_b64_e32 v[14:15], 0
	s_mov_b64 s[14:15], 0
.LBB7_188:                              ;   Parent Loop BB7_145 Depth=1
                                        ; =>  This Inner Loop Header: Depth=2
	s_add_u32 s18, s0, s14
	s_addc_u32 s19, s1, s15
	global_load_ubyte v16, v27, s[18:19]
	s_add_u32 s14, s14, 1
	s_addc_u32 s15, s15, 0
	s_waitcnt vmcnt(0)
	v_and_b32_e32 v26, 0xffff, v16
	v_lshlrev_b64 v[16:17], s12, v[26:27]
	s_add_u32 s12, s12, 8
	s_addc_u32 s13, s13, 0
	v_or_b32_e32 v14, v16, v14
	s_cmp_lg_u32 s16, s14
	v_or_b32_e32 v15, v17, v15
	s_cbranch_scc1 .LBB7_188
	s_branch .LBB7_191
.LBB7_189:                              ;   in Loop: Header=BB7_145 Depth=1
                                        ; implicit-def: $vgpr14_vgpr15
	s_mov_b32 s17, 0
	s_branch .LBB7_192
.LBB7_190:                              ;   in Loop: Header=BB7_145 Depth=1
	v_mov_b64_e32 v[14:15], 0
.LBB7_191:                              ;   in Loop: Header=BB7_145 Depth=1
	s_mov_b64 s[12:13], s[0:1]
	s_mov_b32 s17, 0
	s_cbranch_execnz .LBB7_193
.LBB7_192:                              ;   in Loop: Header=BB7_145 Depth=1
	global_load_dwordx2 v[14:15], v27, s[0:1]
	s_add_i32 s17, s16, -8
.LBB7_193:                              ;   in Loop: Header=BB7_145 Depth=1
	s_cmp_gt_u32 s17, 7
	s_cbranch_scc1 .LBB7_197
; %bb.194:                              ;   in Loop: Header=BB7_145 Depth=1
	s_cmp_eq_u32 s17, 0
	s_cbranch_scc1 .LBB7_198
; %bb.195:                              ;   in Loop: Header=BB7_145 Depth=1
	s_mov_b64 s[0:1], 0
	v_mov_b64_e32 v[16:17], 0
	s_mov_b64 s[14:15], s[12:13]
.LBB7_196:                              ;   Parent Loop BB7_145 Depth=1
                                        ; =>  This Inner Loop Header: Depth=2
	global_load_ubyte v18, v27, s[14:15]
	s_add_i32 s17, s17, -1
	s_waitcnt vmcnt(0)
	v_and_b32_e32 v26, 0xffff, v18
	v_lshlrev_b64 v[18:19], s0, v[26:27]
	s_add_u32 s0, s0, 8
	s_addc_u32 s1, s1, 0
	s_add_u32 s14, s14, 1
	s_addc_u32 s15, s15, 0
	v_or_b32_e32 v16, v18, v16
	s_cmp_lg_u32 s17, 0
	v_or_b32_e32 v17, v19, v17
	s_cbranch_scc1 .LBB7_196
	s_branch .LBB7_199
.LBB7_197:                              ;   in Loop: Header=BB7_145 Depth=1
	s_branch .LBB7_200
.LBB7_198:                              ;   in Loop: Header=BB7_145 Depth=1
	v_mov_b64_e32 v[16:17], 0
.LBB7_199:                              ;   in Loop: Header=BB7_145 Depth=1
	s_cbranch_execnz .LBB7_201
.LBB7_200:                              ;   in Loop: Header=BB7_145 Depth=1
	global_load_dwordx2 v[16:17], v27, s[12:13]
.LBB7_201:                              ;   in Loop: Header=BB7_145 Depth=1
	v_readfirstlane_b32 s0, v25
	v_mov_b64_e32 v[28:29], 0
	s_nop 0
	v_cmp_eq_u32_e64 s[0:1], s0, v25
	s_and_saveexec_b64 s[12:13], s[0:1]
	s_cbranch_execz .LBB7_207
; %bb.202:                              ;   in Loop: Header=BB7_145 Depth=1
	global_load_dwordx2 v[20:21], v27, s[2:3] offset:24 sc0 sc1
	s_waitcnt vmcnt(0)
	buffer_inv sc0 sc1
	global_load_dwordx2 v[18:19], v27, s[2:3] offset:40
	global_load_dwordx2 v[28:29], v27, s[2:3]
	s_waitcnt vmcnt(1)
	v_and_b32_e32 v18, v18, v20
	v_and_b32_e32 v19, v19, v21
	v_mul_lo_u32 v19, v19, 24
	v_mul_hi_u32 v23, v18, 24
	v_add_u32_e32 v19, v23, v19
	v_mul_lo_u32 v18, v18, 24
	s_waitcnt vmcnt(0)
	v_lshl_add_u64 v[18:19], v[28:29], 0, v[18:19]
	global_load_dwordx2 v[18:19], v[18:19], off sc0 sc1
	s_waitcnt vmcnt(0)
	global_atomic_cmpswap_x2 v[28:29], v27, v[18:21], s[2:3] offset:24 sc0 sc1
	s_waitcnt vmcnt(0)
	buffer_inv sc0 sc1
	v_cmp_ne_u64_e32 vcc, v[28:29], v[20:21]
	s_and_saveexec_b64 s[14:15], vcc
	s_cbranch_execz .LBB7_206
; %bb.203:                              ;   in Loop: Header=BB7_145 Depth=1
	s_mov_b64 s[16:17], 0
.LBB7_204:                              ;   Parent Loop BB7_145 Depth=1
                                        ; =>  This Inner Loop Header: Depth=2
	s_sleep 1
	global_load_dwordx2 v[18:19], v27, s[2:3] offset:40
	global_load_dwordx2 v[30:31], v27, s[2:3]
	v_mov_b64_e32 v[20:21], v[28:29]
	s_waitcnt vmcnt(1)
	v_and_b32_e32 v18, v18, v20
	v_and_b32_e32 v23, v19, v21
	s_waitcnt vmcnt(0)
	v_mad_u64_u32 v[18:19], s[18:19], v18, 24, v[30:31]
	v_mov_b32_e32 v26, v19
	v_mad_u64_u32 v[28:29], s[18:19], v23, 24, v[26:27]
	v_mov_b32_e32 v19, v28
	global_load_dwordx2 v[18:19], v[18:19], off sc0 sc1
	s_waitcnt vmcnt(0)
	global_atomic_cmpswap_x2 v[28:29], v27, v[18:21], s[2:3] offset:24 sc0 sc1
	s_waitcnt vmcnt(0)
	buffer_inv sc0 sc1
	v_cmp_eq_u64_e32 vcc, v[28:29], v[20:21]
	s_or_b64 s[16:17], vcc, s[16:17]
	s_andn2_b64 exec, exec, s[16:17]
	s_cbranch_execnz .LBB7_204
; %bb.205:                              ;   in Loop: Header=BB7_145 Depth=1
	s_or_b64 exec, exec, s[16:17]
.LBB7_206:                              ;   in Loop: Header=BB7_145 Depth=1
	s_or_b64 exec, exec, s[14:15]
.LBB7_207:                              ;   in Loop: Header=BB7_145 Depth=1
	s_or_b64 exec, exec, s[12:13]
	global_load_dwordx2 v[30:31], v27, s[2:3] offset:40
	global_load_dwordx4 v[18:21], v27, s[2:3]
	v_readfirstlane_b32 s13, v29
	v_readfirstlane_b32 s12, v28
	s_mov_b64 s[14:15], exec
	s_waitcnt vmcnt(1)
	v_readfirstlane_b32 s16, v30
	v_readfirstlane_b32 s17, v31
	s_and_b64 s[16:17], s[16:17], s[12:13]
	s_mul_i32 s18, s17, 24
	s_mul_hi_u32 s19, s16, 24
	s_add_i32 s19, s19, s18
	s_mul_i32 s18, s16, 24
	s_waitcnt vmcnt(0)
	v_lshl_add_u64 v[28:29], v[18:19], 0, s[18:19]
	s_and_saveexec_b64 s[18:19], s[0:1]
	s_cbranch_execz .LBB7_209
; %bb.208:                              ;   in Loop: Header=BB7_145 Depth=1
	v_mov_b64_e32 v[30:31], s[14:15]
	global_store_dwordx4 v[28:29], v[30:33], off offset:8
.LBB7_209:                              ;   in Loop: Header=BB7_145 Depth=1
	s_or_b64 exec, exec, s[18:19]
	s_lshl_b64 s[14:15], s[16:17], 12
	v_lshl_add_u64 v[20:21], v[20:21], 0, s[14:15]
	v_cmp_lt_u64_e64 vcc, s[4:5], 57
	s_lshl_b32 s14, s10, 2
	s_add_i32 s14, s14, 28
	v_cndmask_b32_e32 v23, 0, v24, vcc
	v_and_b32_e32 v2, 0xffffff1f, v2
	s_and_b32 s14, s14, 0x1e0
	v_or_b32_e32 v2, v2, v23
	v_or_b32_e32 v2, s14, v2
	v_readfirstlane_b32 s14, v20
	v_readfirstlane_b32 s15, v21
	s_nop 4
	global_store_dwordx4 v22, v[2:5], s[14:15]
	global_store_dwordx4 v22, v[6:9], s[14:15] offset:16
	global_store_dwordx4 v22, v[10:13], s[14:15] offset:32
	;; [unrolled: 1-line block ×3, first 2 shown]
	s_and_saveexec_b64 s[14:15], s[0:1]
	s_cbranch_execz .LBB7_217
; %bb.210:                              ;   in Loop: Header=BB7_145 Depth=1
	global_load_dwordx2 v[10:11], v27, s[2:3] offset:32 sc0 sc1
	global_load_dwordx2 v[2:3], v27, s[2:3] offset:40
	v_mov_b32_e32 v8, s12
	v_mov_b32_e32 v9, s13
	s_waitcnt vmcnt(0)
	v_readfirstlane_b32 s16, v2
	v_readfirstlane_b32 s17, v3
	s_and_b64 s[16:17], s[16:17], s[12:13]
	s_mul_i32 s17, s17, 24
	s_mul_hi_u32 s18, s16, 24
	s_mul_i32 s16, s16, 24
	s_add_i32 s17, s18, s17
	v_lshl_add_u64 v[6:7], v[18:19], 0, s[16:17]
	global_store_dwordx2 v[6:7], v[10:11], off
	buffer_wbl2 sc0 sc1
	s_waitcnt vmcnt(0)
	global_atomic_cmpswap_x2 v[4:5], v27, v[8:11], s[2:3] offset:32 sc0 sc1
	s_waitcnt vmcnt(0)
	v_cmp_ne_u64_e32 vcc, v[4:5], v[10:11]
	s_and_saveexec_b64 s[16:17], vcc
	s_cbranch_execz .LBB7_213
; %bb.211:                              ;   in Loop: Header=BB7_145 Depth=1
	s_mov_b64 s[18:19], 0
.LBB7_212:                              ;   Parent Loop BB7_145 Depth=1
                                        ; =>  This Inner Loop Header: Depth=2
	s_sleep 1
	global_store_dwordx2 v[6:7], v[4:5], off
	v_mov_b32_e32 v2, s12
	v_mov_b32_e32 v3, s13
	buffer_wbl2 sc0 sc1
	s_waitcnt vmcnt(0)
	global_atomic_cmpswap_x2 v[2:3], v27, v[2:5], s[2:3] offset:32 sc0 sc1
	s_waitcnt vmcnt(0)
	v_cmp_eq_u64_e32 vcc, v[2:3], v[4:5]
	s_or_b64 s[18:19], vcc, s[18:19]
	v_mov_b64_e32 v[4:5], v[2:3]
	s_andn2_b64 exec, exec, s[18:19]
	s_cbranch_execnz .LBB7_212
.LBB7_213:                              ;   in Loop: Header=BB7_145 Depth=1
	s_or_b64 exec, exec, s[16:17]
	global_load_dwordx2 v[2:3], v27, s[2:3] offset:16
	s_mov_b64 s[18:19], exec
	v_mbcnt_lo_u32_b32 v4, s18, 0
	v_mbcnt_hi_u32_b32 v4, s19, v4
	v_cmp_eq_u32_e32 vcc, 0, v4
	s_and_saveexec_b64 s[16:17], vcc
	s_cbranch_execz .LBB7_215
; %bb.214:                              ;   in Loop: Header=BB7_145 Depth=1
	s_bcnt1_i32_b64 s18, s[18:19]
	v_mov_b32_e32 v26, s18
	buffer_wbl2 sc0 sc1
	s_waitcnt vmcnt(0)
	global_atomic_add_x2 v[2:3], v[26:27], off offset:8 sc1
.LBB7_215:                              ;   in Loop: Header=BB7_145 Depth=1
	s_or_b64 exec, exec, s[16:17]
	s_waitcnt vmcnt(0)
	global_load_dwordx2 v[4:5], v[2:3], off offset:16
	s_waitcnt vmcnt(0)
	v_cmp_eq_u64_e32 vcc, 0, v[4:5]
	s_cbranch_vccnz .LBB7_217
; %bb.216:                              ;   in Loop: Header=BB7_145 Depth=1
	global_load_dword v26, v[2:3], off offset:24
	s_waitcnt vmcnt(0)
	v_readfirstlane_b32 s16, v26
	s_and_b32 m0, s16, 0xffffff
	buffer_wbl2 sc0 sc1
	global_store_dwordx2 v[4:5], v[26:27], off sc0 sc1
	s_sendmsg sendmsg(MSG_INTERRUPT)
.LBB7_217:                              ;   in Loop: Header=BB7_145 Depth=1
	s_or_b64 exec, exec, s[14:15]
	v_mov_b32_e32 v23, v27
	v_lshl_add_u64 v[2:3], v[20:21], 0, v[22:23]
	s_branch .LBB7_221
.LBB7_218:                              ;   in Loop: Header=BB7_221 Depth=2
	s_or_b64 exec, exec, s[14:15]
	v_readfirstlane_b32 s14, v4
	s_cmp_eq_u32 s14, 0
	s_cbranch_scc1 .LBB7_220
; %bb.219:                              ;   in Loop: Header=BB7_221 Depth=2
	s_sleep 1
	s_cbranch_execnz .LBB7_221
	s_branch .LBB7_223
.LBB7_220:                              ;   in Loop: Header=BB7_145 Depth=1
	s_branch .LBB7_223
.LBB7_221:                              ;   Parent Loop BB7_145 Depth=1
                                        ; =>  This Inner Loop Header: Depth=2
	v_mov_b32_e32 v4, 1
	s_and_saveexec_b64 s[14:15], s[0:1]
	s_cbranch_execz .LBB7_218
; %bb.222:                              ;   in Loop: Header=BB7_221 Depth=2
	global_load_dword v4, v[28:29], off offset:20 sc0 sc1
	s_waitcnt vmcnt(0)
	buffer_inv sc0 sc1
	v_and_b32_e32 v4, 1, v4
	s_branch .LBB7_218
.LBB7_223:                              ;   in Loop: Header=BB7_145 Depth=1
	global_load_dwordx2 v[2:3], v[2:3], off
	s_and_saveexec_b64 s[14:15], s[0:1]
	s_cbranch_execz .LBB7_144
; %bb.224:                              ;   in Loop: Header=BB7_145 Depth=1
	global_load_dwordx2 v[4:5], v27, s[2:3] offset:40
	global_load_dwordx2 v[12:13], v27, s[2:3] offset:24 sc0 sc1
	global_load_dwordx2 v[6:7], v27, s[2:3]
	s_waitcnt vmcnt(2)
	v_readfirstlane_b32 s16, v4
	v_readfirstlane_b32 s17, v5
	s_add_u32 s18, s16, 1
	s_addc_u32 s19, s17, 0
	s_add_u32 s0, s18, s12
	s_addc_u32 s1, s19, s13
	s_cmp_eq_u64 s[0:1], 0
	s_cselect_b32 s1, s19, s1
	s_cselect_b32 s0, s18, s0
	s_and_b64 s[12:13], s[0:1], s[16:17]
	s_mul_i32 s13, s13, 24
	s_mul_hi_u32 s16, s12, 24
	s_mul_i32 s12, s12, 24
	s_add_i32 s13, s16, s13
	s_waitcnt vmcnt(0)
	v_lshl_add_u64 v[8:9], v[6:7], 0, s[12:13]
	v_mov_b32_e32 v10, s0
	global_store_dwordx2 v[8:9], v[12:13], off
	v_mov_b32_e32 v11, s1
	buffer_wbl2 sc0 sc1
	s_waitcnt vmcnt(0)
	global_atomic_cmpswap_x2 v[6:7], v27, v[10:13], s[2:3] offset:24 sc0 sc1
	s_waitcnt vmcnt(0)
	v_cmp_ne_u64_e32 vcc, v[6:7], v[12:13]
	s_and_b64 exec, exec, vcc
	s_cbranch_execz .LBB7_144
; %bb.225:                              ;   in Loop: Header=BB7_145 Depth=1
	s_mov_b64 s[12:13], 0
.LBB7_226:                              ;   Parent Loop BB7_145 Depth=1
                                        ; =>  This Inner Loop Header: Depth=2
	s_sleep 1
	global_store_dwordx2 v[8:9], v[6:7], off
	v_mov_b32_e32 v4, s0
	v_mov_b32_e32 v5, s1
	buffer_wbl2 sc0 sc1
	s_waitcnt vmcnt(0)
	global_atomic_cmpswap_x2 v[4:5], v27, v[4:7], s[2:3] offset:24 sc0 sc1
	s_waitcnt vmcnt(0)
	v_cmp_eq_u64_e32 vcc, v[4:5], v[6:7]
	s_or_b64 s[12:13], vcc, s[12:13]
	v_mov_b64_e32 v[6:7], v[4:5]
	s_andn2_b64 exec, exec, s[12:13]
	s_cbranch_execnz .LBB7_226
	s_branch .LBB7_144
.LBB7_227:
                                        ; implicit-def: $vgpr2_vgpr3
	s_cbranch_execnz .LBB7_229
	s_branch .LBB7_255
.LBB7_228:
	s_branch .LBB7_255
.LBB7_229:
	v_readfirstlane_b32 s0, v25
	s_waitcnt vmcnt(0)
	v_mov_b64_e32 v[2:3], 0
	v_cmp_eq_u32_e64 s[0:1], s0, v25
	s_and_saveexec_b64 s[4:5], s[0:1]
	s_cbranch_execz .LBB7_235
; %bb.230:
	v_mov_b32_e32 v4, 0
	global_load_dwordx2 v[8:9], v4, s[2:3] offset:24 sc0 sc1
	s_waitcnt vmcnt(0)
	buffer_inv sc0 sc1
	global_load_dwordx2 v[2:3], v4, s[2:3] offset:40
	global_load_dwordx2 v[6:7], v4, s[2:3]
	s_waitcnt vmcnt(1)
	v_and_b32_e32 v2, v2, v8
	v_and_b32_e32 v3, v3, v9
	v_mul_lo_u32 v3, v3, 24
	v_mul_hi_u32 v5, v2, 24
	v_add_u32_e32 v3, v5, v3
	v_mul_lo_u32 v2, v2, 24
	s_waitcnt vmcnt(0)
	v_lshl_add_u64 v[2:3], v[6:7], 0, v[2:3]
	global_load_dwordx2 v[6:7], v[2:3], off sc0 sc1
	s_waitcnt vmcnt(0)
	global_atomic_cmpswap_x2 v[2:3], v4, v[6:9], s[2:3] offset:24 sc0 sc1
	s_waitcnt vmcnt(0)
	buffer_inv sc0 sc1
	v_cmp_ne_u64_e32 vcc, v[2:3], v[8:9]
	s_and_saveexec_b64 s[6:7], vcc
	s_cbranch_execz .LBB7_234
; %bb.231:
	s_mov_b64 s[10:11], 0
.LBB7_232:                              ; =>This Inner Loop Header: Depth=1
	s_sleep 1
	global_load_dwordx2 v[6:7], v4, s[2:3] offset:40
	global_load_dwordx2 v[10:11], v4, s[2:3]
	v_mov_b64_e32 v[8:9], v[2:3]
	s_waitcnt vmcnt(1)
	v_and_b32_e32 v2, v6, v8
	s_waitcnt vmcnt(0)
	v_mad_u64_u32 v[2:3], s[12:13], v2, 24, v[10:11]
	v_and_b32_e32 v5, v7, v9
	v_mov_b32_e32 v6, v3
	v_mad_u64_u32 v[6:7], s[12:13], v5, 24, v[6:7]
	v_mov_b32_e32 v3, v6
	global_load_dwordx2 v[6:7], v[2:3], off sc0 sc1
	s_waitcnt vmcnt(0)
	global_atomic_cmpswap_x2 v[2:3], v4, v[6:9], s[2:3] offset:24 sc0 sc1
	s_waitcnt vmcnt(0)
	buffer_inv sc0 sc1
	v_cmp_eq_u64_e32 vcc, v[2:3], v[8:9]
	s_or_b64 s[10:11], vcc, s[10:11]
	s_andn2_b64 exec, exec, s[10:11]
	s_cbranch_execnz .LBB7_232
; %bb.233:
	s_or_b64 exec, exec, s[10:11]
.LBB7_234:
	s_or_b64 exec, exec, s[6:7]
.LBB7_235:
	s_or_b64 exec, exec, s[4:5]
	v_mov_b32_e32 v23, 0
	global_load_dwordx2 v[8:9], v23, s[2:3] offset:40
	global_load_dwordx4 v[4:7], v23, s[2:3]
	v_readfirstlane_b32 s5, v3
	v_readfirstlane_b32 s4, v2
	s_mov_b64 s[6:7], exec
	s_waitcnt vmcnt(1)
	v_readfirstlane_b32 s10, v8
	v_readfirstlane_b32 s11, v9
	s_and_b64 s[10:11], s[10:11], s[4:5]
	s_mul_i32 s12, s11, 24
	s_mul_hi_u32 s13, s10, 24
	s_add_i32 s13, s13, s12
	s_mul_i32 s12, s10, 24
	s_waitcnt vmcnt(0)
	v_lshl_add_u64 v[8:9], v[4:5], 0, s[12:13]
	s_and_saveexec_b64 s[12:13], s[0:1]
	s_cbranch_execz .LBB7_237
; %bb.236:
	v_mov_b64_e32 v[10:11], s[6:7]
	v_mov_b32_e32 v12, 2
	v_mov_b32_e32 v13, 1
	global_store_dwordx4 v[8:9], v[10:13], off offset:8
.LBB7_237:
	s_or_b64 exec, exec, s[12:13]
	s_lshl_b64 s[6:7], s[10:11], 12
	v_lshl_add_u64 v[6:7], v[6:7], 0, s[6:7]
	s_movk_i32 s6, 0xff1f
	s_mov_b32 s12, 0
	v_and_or_b32 v0, v0, s6, 32
	v_mov_b32_e32 v2, v23
	v_mov_b32_e32 v3, v23
	v_readfirstlane_b32 s6, v6
	v_readfirstlane_b32 s7, v7
	s_mov_b32 s13, s12
	s_mov_b32 s14, s12
	;; [unrolled: 1-line block ×3, first 2 shown]
	s_nop 1
	global_store_dwordx4 v22, v[0:3], s[6:7]
	s_nop 1
	v_mov_b64_e32 v[0:1], s[12:13]
	v_mov_b64_e32 v[2:3], s[14:15]
	global_store_dwordx4 v22, v[0:3], s[6:7] offset:16
	global_store_dwordx4 v22, v[0:3], s[6:7] offset:32
	;; [unrolled: 1-line block ×3, first 2 shown]
	s_and_saveexec_b64 s[6:7], s[0:1]
	s_cbranch_execz .LBB7_245
; %bb.238:
	v_mov_b32_e32 v10, 0
	global_load_dwordx2 v[14:15], v10, s[2:3] offset:32 sc0 sc1
	global_load_dwordx2 v[0:1], v10, s[2:3] offset:40
	v_mov_b32_e32 v12, s4
	v_mov_b32_e32 v13, s5
	s_waitcnt vmcnt(0)
	v_readfirstlane_b32 s10, v0
	v_readfirstlane_b32 s11, v1
	s_and_b64 s[10:11], s[10:11], s[4:5]
	s_mul_i32 s11, s11, 24
	s_mul_hi_u32 s12, s10, 24
	s_mul_i32 s10, s10, 24
	s_add_i32 s11, s12, s11
	v_lshl_add_u64 v[4:5], v[4:5], 0, s[10:11]
	global_store_dwordx2 v[4:5], v[14:15], off
	buffer_wbl2 sc0 sc1
	s_waitcnt vmcnt(0)
	global_atomic_cmpswap_x2 v[2:3], v10, v[12:15], s[2:3] offset:32 sc0 sc1
	s_waitcnt vmcnt(0)
	v_cmp_ne_u64_e32 vcc, v[2:3], v[14:15]
	s_and_saveexec_b64 s[10:11], vcc
	s_cbranch_execz .LBB7_241
; %bb.239:
	s_mov_b64 s[12:13], 0
.LBB7_240:                              ; =>This Inner Loop Header: Depth=1
	s_sleep 1
	global_store_dwordx2 v[4:5], v[2:3], off
	v_mov_b32_e32 v0, s4
	v_mov_b32_e32 v1, s5
	buffer_wbl2 sc0 sc1
	s_waitcnt vmcnt(0)
	global_atomic_cmpswap_x2 v[0:1], v10, v[0:3], s[2:3] offset:32 sc0 sc1
	s_waitcnt vmcnt(0)
	v_cmp_eq_u64_e32 vcc, v[0:1], v[2:3]
	s_or_b64 s[12:13], vcc, s[12:13]
	v_mov_b64_e32 v[2:3], v[0:1]
	s_andn2_b64 exec, exec, s[12:13]
	s_cbranch_execnz .LBB7_240
.LBB7_241:
	s_or_b64 exec, exec, s[10:11]
	v_mov_b32_e32 v3, 0
	global_load_dwordx2 v[0:1], v3, s[2:3] offset:16
	s_mov_b64 s[10:11], exec
	v_mbcnt_lo_u32_b32 v2, s10, 0
	v_mbcnt_hi_u32_b32 v2, s11, v2
	v_cmp_eq_u32_e32 vcc, 0, v2
	s_and_saveexec_b64 s[12:13], vcc
	s_cbranch_execz .LBB7_243
; %bb.242:
	s_bcnt1_i32_b64 s10, s[10:11]
	v_mov_b32_e32 v2, s10
	buffer_wbl2 sc0 sc1
	s_waitcnt vmcnt(0)
	global_atomic_add_x2 v[0:1], v[2:3], off offset:8 sc1
.LBB7_243:
	s_or_b64 exec, exec, s[12:13]
	s_waitcnt vmcnt(0)
	global_load_dwordx2 v[2:3], v[0:1], off offset:16
	s_waitcnt vmcnt(0)
	v_cmp_eq_u64_e32 vcc, 0, v[2:3]
	s_cbranch_vccnz .LBB7_245
; %bb.244:
	global_load_dword v0, v[0:1], off offset:24
	v_mov_b32_e32 v1, 0
	s_waitcnt vmcnt(0)
	v_readfirstlane_b32 s10, v0
	s_and_b32 m0, s10, 0xffffff
	buffer_wbl2 sc0 sc1
	global_store_dwordx2 v[2:3], v[0:1], off sc0 sc1
	s_sendmsg sendmsg(MSG_INTERRUPT)
.LBB7_245:
	s_or_b64 exec, exec, s[6:7]
	v_lshl_add_u64 v[0:1], v[6:7], 0, v[22:23]
	s_branch .LBB7_249
.LBB7_246:                              ;   in Loop: Header=BB7_249 Depth=1
	s_or_b64 exec, exec, s[6:7]
	v_readfirstlane_b32 s6, v2
	s_cmp_eq_u32 s6, 0
	s_cbranch_scc1 .LBB7_248
; %bb.247:                              ;   in Loop: Header=BB7_249 Depth=1
	s_sleep 1
	s_cbranch_execnz .LBB7_249
	s_branch .LBB7_251
.LBB7_248:
	s_branch .LBB7_251
.LBB7_249:                              ; =>This Inner Loop Header: Depth=1
	v_mov_b32_e32 v2, 1
	s_and_saveexec_b64 s[6:7], s[0:1]
	s_cbranch_execz .LBB7_246
; %bb.250:                              ;   in Loop: Header=BB7_249 Depth=1
	global_load_dword v2, v[8:9], off offset:20 sc0 sc1
	s_waitcnt vmcnt(0)
	buffer_inv sc0 sc1
	v_and_b32_e32 v2, 1, v2
	s_branch .LBB7_246
.LBB7_251:
	global_load_dwordx2 v[2:3], v[0:1], off
	s_and_saveexec_b64 s[6:7], s[0:1]
	s_cbranch_execz .LBB7_254
; %bb.252:
	v_mov_b32_e32 v8, 0
	global_load_dwordx2 v[0:1], v8, s[2:3] offset:40
	global_load_dwordx2 v[12:13], v8, s[2:3] offset:24 sc0 sc1
	global_load_dwordx2 v[4:5], v8, s[2:3]
	s_waitcnt vmcnt(2)
	v_readfirstlane_b32 s10, v0
	v_readfirstlane_b32 s11, v1
	s_add_u32 s12, s10, 1
	s_addc_u32 s13, s11, 0
	s_add_u32 s0, s12, s4
	s_addc_u32 s1, s13, s5
	s_cmp_eq_u64 s[0:1], 0
	s_cselect_b32 s1, s13, s1
	s_cselect_b32 s0, s12, s0
	s_and_b64 s[4:5], s[0:1], s[10:11]
	s_mul_i32 s5, s5, 24
	s_mul_hi_u32 s10, s4, 24
	s_mul_i32 s4, s4, 24
	s_add_i32 s5, s10, s5
	s_waitcnt vmcnt(0)
	v_lshl_add_u64 v[0:1], v[4:5], 0, s[4:5]
	v_mov_b32_e32 v10, s0
	global_store_dwordx2 v[0:1], v[12:13], off
	v_mov_b32_e32 v11, s1
	buffer_wbl2 sc0 sc1
	s_waitcnt vmcnt(0)
	global_atomic_cmpswap_x2 v[6:7], v8, v[10:13], s[2:3] offset:24 sc0 sc1
	s_mov_b64 s[4:5], 0
	s_waitcnt vmcnt(0)
	v_cmp_ne_u64_e32 vcc, v[6:7], v[12:13]
	s_and_b64 exec, exec, vcc
	s_cbranch_execz .LBB7_254
.LBB7_253:                              ; =>This Inner Loop Header: Depth=1
	s_sleep 1
	global_store_dwordx2 v[0:1], v[6:7], off
	v_mov_b32_e32 v4, s0
	v_mov_b32_e32 v5, s1
	buffer_wbl2 sc0 sc1
	s_waitcnt vmcnt(0)
	global_atomic_cmpswap_x2 v[4:5], v8, v[4:7], s[2:3] offset:24 sc0 sc1
	s_waitcnt vmcnt(0)
	v_cmp_eq_u64_e32 vcc, v[4:5], v[6:7]
	s_or_b64 s[4:5], vcc, s[4:5]
	v_mov_b64_e32 v[6:7], v[4:5]
	s_andn2_b64 exec, exec, s[4:5]
	s_cbranch_execnz .LBB7_253
.LBB7_254:
	s_or_b64 exec, exec, s[6:7]
.LBB7_255:
	v_readfirstlane_b32 s0, v25
	s_waitcnt vmcnt(0)
	v_mov_b64_e32 v[0:1], 0
	v_cmp_eq_u32_e64 s[0:1], s0, v25
	s_and_saveexec_b64 s[4:5], s[0:1]
	s_cbranch_execz .LBB7_261
; %bb.256:
	v_mov_b32_e32 v4, 0
	global_load_dwordx2 v[8:9], v4, s[2:3] offset:24 sc0 sc1
	s_waitcnt vmcnt(0)
	buffer_inv sc0 sc1
	global_load_dwordx2 v[0:1], v4, s[2:3] offset:40
	global_load_dwordx2 v[6:7], v4, s[2:3]
	s_waitcnt vmcnt(1)
	v_and_b32_e32 v0, v0, v8
	v_and_b32_e32 v1, v1, v9
	v_mul_lo_u32 v1, v1, 24
	v_mul_hi_u32 v5, v0, 24
	v_add_u32_e32 v1, v5, v1
	v_mul_lo_u32 v0, v0, 24
	s_waitcnt vmcnt(0)
	v_lshl_add_u64 v[0:1], v[6:7], 0, v[0:1]
	global_load_dwordx2 v[6:7], v[0:1], off sc0 sc1
	s_waitcnt vmcnt(0)
	global_atomic_cmpswap_x2 v[0:1], v4, v[6:9], s[2:3] offset:24 sc0 sc1
	s_waitcnt vmcnt(0)
	buffer_inv sc0 sc1
	v_cmp_ne_u64_e32 vcc, v[0:1], v[8:9]
	s_and_saveexec_b64 s[6:7], vcc
	s_cbranch_execz .LBB7_260
; %bb.257:
	s_mov_b64 s[10:11], 0
.LBB7_258:                              ; =>This Inner Loop Header: Depth=1
	s_sleep 1
	global_load_dwordx2 v[6:7], v4, s[2:3] offset:40
	global_load_dwordx2 v[10:11], v4, s[2:3]
	v_mov_b64_e32 v[8:9], v[0:1]
	s_waitcnt vmcnt(1)
	v_and_b32_e32 v0, v6, v8
	s_waitcnt vmcnt(0)
	v_mad_u64_u32 v[0:1], s[12:13], v0, 24, v[10:11]
	v_and_b32_e32 v5, v7, v9
	v_mov_b32_e32 v6, v1
	v_mad_u64_u32 v[6:7], s[12:13], v5, 24, v[6:7]
	v_mov_b32_e32 v1, v6
	global_load_dwordx2 v[6:7], v[0:1], off sc0 sc1
	s_waitcnt vmcnt(0)
	global_atomic_cmpswap_x2 v[0:1], v4, v[6:9], s[2:3] offset:24 sc0 sc1
	s_waitcnt vmcnt(0)
	buffer_inv sc0 sc1
	v_cmp_eq_u64_e32 vcc, v[0:1], v[8:9]
	s_or_b64 s[10:11], vcc, s[10:11]
	s_andn2_b64 exec, exec, s[10:11]
	s_cbranch_execnz .LBB7_258
; %bb.259:
	s_or_b64 exec, exec, s[10:11]
.LBB7_260:
	s_or_b64 exec, exec, s[6:7]
.LBB7_261:
	s_or_b64 exec, exec, s[4:5]
	v_mov_b32_e32 v23, 0
	global_load_dwordx2 v[4:5], v23, s[2:3] offset:40
	global_load_dwordx4 v[6:9], v23, s[2:3]
	v_readfirstlane_b32 s5, v1
	v_readfirstlane_b32 s4, v0
	s_mov_b64 s[6:7], exec
	s_waitcnt vmcnt(1)
	v_readfirstlane_b32 s10, v4
	v_readfirstlane_b32 s11, v5
	s_and_b64 s[10:11], s[10:11], s[4:5]
	s_mul_i32 s12, s11, 24
	s_mul_hi_u32 s13, s10, 24
	s_add_i32 s13, s13, s12
	s_mul_i32 s12, s10, 24
	s_waitcnt vmcnt(0)
	v_lshl_add_u64 v[10:11], v[6:7], 0, s[12:13]
	s_and_saveexec_b64 s[12:13], s[0:1]
	s_cbranch_execz .LBB7_263
; %bb.262:
	v_mov_b64_e32 v[12:13], s[6:7]
	v_mov_b32_e32 v14, 2
	v_mov_b32_e32 v15, 1
	global_store_dwordx4 v[10:11], v[12:15], off offset:8
.LBB7_263:
	s_or_b64 exec, exec, s[12:13]
	s_lshl_b64 s[6:7], s[10:11], 12
	v_lshl_add_u64 v[8:9], v[8:9], 0, s[6:7]
	s_movk_i32 s6, 0xff1f
	s_mov_b32 s12, 0
	v_and_or_b32 v2, v2, s6, 32
	v_mov_b32_e32 v4, 0x41
	v_mov_b32_e32 v5, v23
	v_readfirstlane_b32 s6, v8
	v_readfirstlane_b32 s7, v9
	s_mov_b32 s13, s12
	s_mov_b32 s14, s12
	s_mov_b32 s15, s12
	s_nop 1
	global_store_dwordx4 v22, v[2:5], s[6:7]
	v_mov_b64_e32 v[0:1], s[12:13]
	s_nop 0
	v_mov_b64_e32 v[2:3], s[14:15]
	global_store_dwordx4 v22, v[0:3], s[6:7] offset:16
	global_store_dwordx4 v22, v[0:3], s[6:7] offset:32
	;; [unrolled: 1-line block ×3, first 2 shown]
	s_and_saveexec_b64 s[6:7], s[0:1]
	s_cbranch_execz .LBB7_271
; %bb.264:
	v_mov_b32_e32 v12, 0
	global_load_dwordx2 v[16:17], v12, s[2:3] offset:32 sc0 sc1
	global_load_dwordx2 v[0:1], v12, s[2:3] offset:40
	v_mov_b32_e32 v14, s4
	v_mov_b32_e32 v15, s5
	s_waitcnt vmcnt(0)
	v_readfirstlane_b32 s10, v0
	v_readfirstlane_b32 s11, v1
	s_and_b64 s[10:11], s[10:11], s[4:5]
	s_mul_i32 s11, s11, 24
	s_mul_hi_u32 s12, s10, 24
	s_mul_i32 s10, s10, 24
	s_add_i32 s11, s12, s11
	v_lshl_add_u64 v[4:5], v[6:7], 0, s[10:11]
	global_store_dwordx2 v[4:5], v[16:17], off
	buffer_wbl2 sc0 sc1
	s_waitcnt vmcnt(0)
	global_atomic_cmpswap_x2 v[2:3], v12, v[14:17], s[2:3] offset:32 sc0 sc1
	s_waitcnt vmcnt(0)
	v_cmp_ne_u64_e32 vcc, v[2:3], v[16:17]
	s_and_saveexec_b64 s[10:11], vcc
	s_cbranch_execz .LBB7_267
; %bb.265:
	s_mov_b64 s[12:13], 0
.LBB7_266:                              ; =>This Inner Loop Header: Depth=1
	s_sleep 1
	global_store_dwordx2 v[4:5], v[2:3], off
	v_mov_b32_e32 v0, s4
	v_mov_b32_e32 v1, s5
	buffer_wbl2 sc0 sc1
	s_waitcnt vmcnt(0)
	global_atomic_cmpswap_x2 v[0:1], v12, v[0:3], s[2:3] offset:32 sc0 sc1
	s_waitcnt vmcnt(0)
	v_cmp_eq_u64_e32 vcc, v[0:1], v[2:3]
	s_or_b64 s[12:13], vcc, s[12:13]
	v_mov_b64_e32 v[2:3], v[0:1]
	s_andn2_b64 exec, exec, s[12:13]
	s_cbranch_execnz .LBB7_266
.LBB7_267:
	s_or_b64 exec, exec, s[10:11]
	v_mov_b32_e32 v3, 0
	global_load_dwordx2 v[0:1], v3, s[2:3] offset:16
	s_mov_b64 s[10:11], exec
	v_mbcnt_lo_u32_b32 v2, s10, 0
	v_mbcnt_hi_u32_b32 v2, s11, v2
	v_cmp_eq_u32_e32 vcc, 0, v2
	s_and_saveexec_b64 s[12:13], vcc
	s_cbranch_execz .LBB7_269
; %bb.268:
	s_bcnt1_i32_b64 s10, s[10:11]
	v_mov_b32_e32 v2, s10
	buffer_wbl2 sc0 sc1
	s_waitcnt vmcnt(0)
	global_atomic_add_x2 v[0:1], v[2:3], off offset:8 sc1
.LBB7_269:
	s_or_b64 exec, exec, s[12:13]
	s_waitcnt vmcnt(0)
	global_load_dwordx2 v[2:3], v[0:1], off offset:16
	s_waitcnt vmcnt(0)
	v_cmp_eq_u64_e32 vcc, 0, v[2:3]
	s_cbranch_vccnz .LBB7_271
; %bb.270:
	global_load_dword v0, v[0:1], off offset:24
	v_mov_b32_e32 v1, 0
	s_waitcnt vmcnt(0)
	v_readfirstlane_b32 s10, v0
	s_and_b32 m0, s10, 0xffffff
	buffer_wbl2 sc0 sc1
	global_store_dwordx2 v[2:3], v[0:1], off sc0 sc1
	s_sendmsg sendmsg(MSG_INTERRUPT)
.LBB7_271:
	s_or_b64 exec, exec, s[6:7]
	v_lshl_add_u64 v[0:1], v[8:9], 0, v[22:23]
	s_branch .LBB7_275
.LBB7_272:                              ;   in Loop: Header=BB7_275 Depth=1
	s_or_b64 exec, exec, s[6:7]
	v_readfirstlane_b32 s6, v2
	s_cmp_eq_u32 s6, 0
	s_cbranch_scc1 .LBB7_274
; %bb.273:                              ;   in Loop: Header=BB7_275 Depth=1
	s_sleep 1
	s_cbranch_execnz .LBB7_275
	s_branch .LBB7_277
.LBB7_274:
	s_branch .LBB7_277
.LBB7_275:                              ; =>This Inner Loop Header: Depth=1
	v_mov_b32_e32 v2, 1
	s_and_saveexec_b64 s[6:7], s[0:1]
	s_cbranch_execz .LBB7_272
; %bb.276:                              ;   in Loop: Header=BB7_275 Depth=1
	global_load_dword v2, v[10:11], off offset:20 sc0 sc1
	s_waitcnt vmcnt(0)
	buffer_inv sc0 sc1
	v_and_b32_e32 v2, 1, v2
	s_branch .LBB7_272
.LBB7_277:
	global_load_dwordx2 v[0:1], v[0:1], off
	s_and_saveexec_b64 s[6:7], s[0:1]
	s_cbranch_execz .LBB7_280
; %bb.278:
	v_mov_b32_e32 v8, 0
	global_load_dwordx2 v[2:3], v8, s[2:3] offset:40
	global_load_dwordx2 v[12:13], v8, s[2:3] offset:24 sc0 sc1
	global_load_dwordx2 v[4:5], v8, s[2:3]
	s_waitcnt vmcnt(2)
	v_readfirstlane_b32 s10, v2
	v_readfirstlane_b32 s11, v3
	s_add_u32 s12, s10, 1
	s_addc_u32 s13, s11, 0
	s_add_u32 s0, s12, s4
	s_addc_u32 s1, s13, s5
	s_cmp_eq_u64 s[0:1], 0
	s_cselect_b32 s1, s13, s1
	s_cselect_b32 s0, s12, s0
	s_and_b64 s[4:5], s[0:1], s[10:11]
	s_mul_i32 s5, s5, 24
	s_mul_hi_u32 s10, s4, 24
	s_mul_i32 s4, s4, 24
	s_add_i32 s5, s10, s5
	s_waitcnt vmcnt(0)
	v_lshl_add_u64 v[6:7], v[4:5], 0, s[4:5]
	v_mov_b32_e32 v10, s0
	global_store_dwordx2 v[6:7], v[12:13], off
	v_mov_b32_e32 v11, s1
	buffer_wbl2 sc0 sc1
	s_waitcnt vmcnt(0)
	global_atomic_cmpswap_x2 v[4:5], v8, v[10:13], s[2:3] offset:24 sc0 sc1
	s_mov_b64 s[4:5], 0
	s_waitcnt vmcnt(0)
	v_cmp_ne_u64_e32 vcc, v[4:5], v[12:13]
	s_and_b64 exec, exec, vcc
	s_cbranch_execz .LBB7_280
.LBB7_279:                              ; =>This Inner Loop Header: Depth=1
	s_sleep 1
	global_store_dwordx2 v[6:7], v[4:5], off
	v_mov_b32_e32 v2, s0
	v_mov_b32_e32 v3, s1
	buffer_wbl2 sc0 sc1
	s_waitcnt vmcnt(0)
	global_atomic_cmpswap_x2 v[2:3], v8, v[2:5], s[2:3] offset:24 sc0 sc1
	s_waitcnt vmcnt(0)
	v_cmp_eq_u64_e32 vcc, v[2:3], v[4:5]
	s_or_b64 s[4:5], vcc, s[4:5]
	v_mov_b64_e32 v[4:5], v[2:3]
	s_andn2_b64 exec, exec, s[4:5]
	s_cbranch_execnz .LBB7_279
.LBB7_280:
	s_or_b64 exec, exec, s[6:7]
	s_getpc_b64 s[0:1]
	s_add_u32 s0, s0, __FUNCTION__._ZL18flash_attn_ext_vecILi64ELi1EL9ggml_type7ELS0_7ELb1EEvPKcS2_S2_S2_S2_PKiPfP15HIP_vector_typeIfLj2EEffffjfiS6_IjLj3EEiiiiiiiiiiiliiliiiiil@rel32@lo+4
	s_addc_u32 s1, s1, __FUNCTION__._ZL18flash_attn_ext_vecILi64ELi1EL9ggml_type7ELS0_7ELb1EEvPKcS2_S2_S2_S2_PKiPfP15HIP_vector_typeIfLj2EEffffjfiS6_IjLj3EEiiiiiiiiiiiliiliiiiil@rel32@hi+12
	s_cmp_lg_u64 s[0:1], 0
	s_cselect_b32 s4, 19, 0
	s_getpc_b64 s[2:3]
	s_add_u32 s2, s2, __ockl_printf_append_string_n@rel32@lo+4
	s_addc_u32 s3, s3, __ockl_printf_append_string_n@rel32@hi+12
	v_mov_b32_e32 v2, s0
	v_mov_b32_e32 v3, s1
	;; [unrolled: 1-line block ×4, first 2 shown]
	s_mov_b64 s[18:19], s[8:9]
	s_swappc_b64 s[30:31], s[2:3]
	s_getpc_b64 s[0:1]
	s_add_u32 s0, s0, __ockl_printf_append_args@rel32@lo+4
	s_addc_u32 s1, s1, __ockl_printf_append_args@rel32@hi+12
	s_mov_b64 s[8:9], s[18:19]
	v_mov_b32_e32 v2, 0x514
	v_mov_b32_e32 v3, 0
	;; [unrolled: 1-line block ×3, first 2 shown]
	s_swappc_b64 s[30:31], s[0:1]
	s_trap 2
.Lfunc_end7:
	.size	_ZL14no_device_codePKciS0_iS0_, .Lfunc_end7-_ZL14no_device_codePKciS0_iS0_
                                        ; -- End function
	.set .L_ZL14no_device_codePKciS0_iS0_.num_vgpr, max(41, .L__ockl_printf_append_string_n.num_vgpr, .L__ockl_printf_append_args.num_vgpr)
	.set .L_ZL14no_device_codePKciS0_iS0_.num_agpr, max(0, .L__ockl_printf_append_string_n.num_agpr, .L__ockl_printf_append_args.num_agpr)
	.set .L_ZL14no_device_codePKciS0_iS0_.numbered_sgpr, max(34, .L__ockl_printf_append_string_n.numbered_sgpr, .L__ockl_printf_append_args.numbered_sgpr)
	.set .L_ZL14no_device_codePKciS0_iS0_.num_named_barrier, max(0, .L__ockl_printf_append_string_n.num_named_barrier, .L__ockl_printf_append_args.num_named_barrier)
	.set .L_ZL14no_device_codePKciS0_iS0_.private_seg_size, 16+max(.L__ockl_printf_append_string_n.private_seg_size, .L__ockl_printf_append_args.private_seg_size)
	.set .L_ZL14no_device_codePKciS0_iS0_.uses_vcc, or(1, .L__ockl_printf_append_string_n.uses_vcc, .L__ockl_printf_append_args.uses_vcc)
	.set .L_ZL14no_device_codePKciS0_iS0_.uses_flat_scratch, or(0, .L__ockl_printf_append_string_n.uses_flat_scratch, .L__ockl_printf_append_args.uses_flat_scratch)
	.set .L_ZL14no_device_codePKciS0_iS0_.has_dyn_sized_stack, or(0, .L__ockl_printf_append_string_n.has_dyn_sized_stack, .L__ockl_printf_append_args.has_dyn_sized_stack)
	.set .L_ZL14no_device_codePKciS0_iS0_.has_recursion, or(0, .L__ockl_printf_append_string_n.has_recursion, .L__ockl_printf_append_args.has_recursion)
	.set .L_ZL14no_device_codePKciS0_iS0_.has_indirect_call, or(0, .L__ockl_printf_append_string_n.has_indirect_call, .L__ockl_printf_append_args.has_indirect_call)
	.section	.AMDGPU.csdata,"",@progbits
; Function info:
; codeLenInByte = 9536
; TotalNumSgprs: 40
; NumVgprs: 52
; NumAgprs: 0
; TotalNumVgprs: 52
; ScratchSize: 16
; MemoryBound: 0
	.section	.text._ZL18flash_attn_ext_vecILi64ELi1EL9ggml_type7ELS0_7ELb1EEvPKcS2_S2_S2_S2_PKiPfP15HIP_vector_typeIfLj2EEffffjfiS6_IjLj3EEiiiiiiiiiiiliiliiiiil,"axG",@progbits,_ZL18flash_attn_ext_vecILi64ELi1EL9ggml_type7ELS0_7ELb1EEvPKcS2_S2_S2_S2_PKiPfP15HIP_vector_typeIfLj2EEffffjfiS6_IjLj3EEiiiiiiiiiiiliiliiiiil,comdat
	.globl	_ZL18flash_attn_ext_vecILi64ELi1EL9ggml_type7ELS0_7ELb1EEvPKcS2_S2_S2_S2_PKiPfP15HIP_vector_typeIfLj2EEffffjfiS6_IjLj3EEiiiiiiiiiiiliiliiiiil ; -- Begin function _ZL18flash_attn_ext_vecILi64ELi1EL9ggml_type7ELS0_7ELb1EEvPKcS2_S2_S2_S2_PKiPfP15HIP_vector_typeIfLj2EEffffjfiS6_IjLj3EEiiiiiiiiiiiliiliiiiil
	.p2align	8
	.type	_ZL18flash_attn_ext_vecILi64ELi1EL9ggml_type7ELS0_7ELb1EEvPKcS2_S2_S2_S2_PKiPfP15HIP_vector_typeIfLj2EEffffjfiS6_IjLj3EEiiiiiiiiiiiliiliiiiil,@function
_ZL18flash_attn_ext_vecILi64ELi1EL9ggml_type7ELS0_7ELb1EEvPKcS2_S2_S2_S2_PKiPfP15HIP_vector_typeIfLj2EEffffjfiS6_IjLj3EEiiiiiiiiiiiliiliiiiil: ; @_ZL18flash_attn_ext_vecILi64ELi1EL9ggml_type7ELS0_7ELb1EEvPKcS2_S2_S2_S2_PKiPfP15HIP_vector_typeIfLj2EEffffjfiS6_IjLj3EEiiiiiiiiiiiliiliiiiil
; %bb.0:
	s_add_u32 s8, s0, 0xd0
	s_addc_u32 s9, s1, 0
	s_getpc_b64 s[0:1]
	s_add_u32 s0, s0, _ZL14no_device_codePKciS0_iS0_@rel32@lo+4
	s_addc_u32 s1, s1, _ZL14no_device_codePKciS0_iS0_@rel32@hi+12
	s_mov_b32 s32, 0
	s_swappc_b64 s[30:31], s[0:1]
	.section	.rodata,"a",@progbits
	.p2align	6, 0x0
	.amdhsa_kernel _ZL18flash_attn_ext_vecILi64ELi1EL9ggml_type7ELS0_7ELb1EEvPKcS2_S2_S2_S2_PKiPfP15HIP_vector_typeIfLj2EEffffjfiS6_IjLj3EEiiiiiiiiiiiliiliiiiil
		.amdhsa_group_segment_fixed_size 0
		.amdhsa_private_segment_fixed_size 16
		.amdhsa_kernarg_size 464
		.amdhsa_user_sgpr_count 2
		.amdhsa_user_sgpr_dispatch_ptr 0
		.amdhsa_user_sgpr_queue_ptr 0
		.amdhsa_user_sgpr_kernarg_segment_ptr 1
		.amdhsa_user_sgpr_dispatch_id 0
		.amdhsa_user_sgpr_kernarg_preload_length 0
		.amdhsa_user_sgpr_kernarg_preload_offset 0
		.amdhsa_user_sgpr_private_segment_size 0
		.amdhsa_uses_dynamic_stack 0
		.amdhsa_enable_private_segment 1
		.amdhsa_system_sgpr_workgroup_id_x 1
		.amdhsa_system_sgpr_workgroup_id_y 0
		.amdhsa_system_sgpr_workgroup_id_z 0
		.amdhsa_system_sgpr_workgroup_info 0
		.amdhsa_system_vgpr_workitem_id 0
		.amdhsa_next_free_vgpr 52
		.amdhsa_next_free_sgpr 34
		.amdhsa_accum_offset 52
		.amdhsa_reserve_vcc 1
		.amdhsa_float_round_mode_32 0
		.amdhsa_float_round_mode_16_64 0
		.amdhsa_float_denorm_mode_32 3
		.amdhsa_float_denorm_mode_16_64 3
		.amdhsa_dx10_clamp 1
		.amdhsa_ieee_mode 1
		.amdhsa_fp16_overflow 0
		.amdhsa_tg_split 0
		.amdhsa_exception_fp_ieee_invalid_op 0
		.amdhsa_exception_fp_denorm_src 0
		.amdhsa_exception_fp_ieee_div_zero 0
		.amdhsa_exception_fp_ieee_overflow 0
		.amdhsa_exception_fp_ieee_underflow 0
		.amdhsa_exception_fp_ieee_inexact 0
		.amdhsa_exception_int_div_zero 0
	.end_amdhsa_kernel
	.section	.text._ZL18flash_attn_ext_vecILi64ELi1EL9ggml_type7ELS0_7ELb1EEvPKcS2_S2_S2_S2_PKiPfP15HIP_vector_typeIfLj2EEffffjfiS6_IjLj3EEiiiiiiiiiiiliiliiiiil,"axG",@progbits,_ZL18flash_attn_ext_vecILi64ELi1EL9ggml_type7ELS0_7ELb1EEvPKcS2_S2_S2_S2_PKiPfP15HIP_vector_typeIfLj2EEffffjfiS6_IjLj3EEiiiiiiiiiiiliiliiiiil,comdat
.Lfunc_end8:
	.size	_ZL18flash_attn_ext_vecILi64ELi1EL9ggml_type7ELS0_7ELb1EEvPKcS2_S2_S2_S2_PKiPfP15HIP_vector_typeIfLj2EEffffjfiS6_IjLj3EEiiiiiiiiiiiliiliiiiil, .Lfunc_end8-_ZL18flash_attn_ext_vecILi64ELi1EL9ggml_type7ELS0_7ELb1EEvPKcS2_S2_S2_S2_PKiPfP15HIP_vector_typeIfLj2EEffffjfiS6_IjLj3EEiiiiiiiiiiiliiliiiiil
                                        ; -- End function
	.set _ZL18flash_attn_ext_vecILi64ELi1EL9ggml_type7ELS0_7ELb1EEvPKcS2_S2_S2_S2_PKiPfP15HIP_vector_typeIfLj2EEffffjfiS6_IjLj3EEiiiiiiiiiiiliiliiiiil.num_vgpr, max(0, .L_ZL14no_device_codePKciS0_iS0_.num_vgpr)
	.set _ZL18flash_attn_ext_vecILi64ELi1EL9ggml_type7ELS0_7ELb1EEvPKcS2_S2_S2_S2_PKiPfP15HIP_vector_typeIfLj2EEffffjfiS6_IjLj3EEiiiiiiiiiiiliiliiiiil.num_agpr, max(0, .L_ZL14no_device_codePKciS0_iS0_.num_agpr)
	.set _ZL18flash_attn_ext_vecILi64ELi1EL9ggml_type7ELS0_7ELb1EEvPKcS2_S2_S2_S2_PKiPfP15HIP_vector_typeIfLj2EEffffjfiS6_IjLj3EEiiiiiiiiiiiliiliiiiil.numbered_sgpr, max(33, .L_ZL14no_device_codePKciS0_iS0_.numbered_sgpr)
	.set _ZL18flash_attn_ext_vecILi64ELi1EL9ggml_type7ELS0_7ELb1EEvPKcS2_S2_S2_S2_PKiPfP15HIP_vector_typeIfLj2EEffffjfiS6_IjLj3EEiiiiiiiiiiiliiliiiiil.num_named_barrier, max(0, .L_ZL14no_device_codePKciS0_iS0_.num_named_barrier)
	.set _ZL18flash_attn_ext_vecILi64ELi1EL9ggml_type7ELS0_7ELb1EEvPKcS2_S2_S2_S2_PKiPfP15HIP_vector_typeIfLj2EEffffjfiS6_IjLj3EEiiiiiiiiiiiliiliiiiil.private_seg_size, 0+max(.L_ZL14no_device_codePKciS0_iS0_.private_seg_size)
	.set _ZL18flash_attn_ext_vecILi64ELi1EL9ggml_type7ELS0_7ELb1EEvPKcS2_S2_S2_S2_PKiPfP15HIP_vector_typeIfLj2EEffffjfiS6_IjLj3EEiiiiiiiiiiiliiliiiiil.uses_vcc, or(1, .L_ZL14no_device_codePKciS0_iS0_.uses_vcc)
	.set _ZL18flash_attn_ext_vecILi64ELi1EL9ggml_type7ELS0_7ELb1EEvPKcS2_S2_S2_S2_PKiPfP15HIP_vector_typeIfLj2EEffffjfiS6_IjLj3EEiiiiiiiiiiiliiliiiiil.uses_flat_scratch, or(0, .L_ZL14no_device_codePKciS0_iS0_.uses_flat_scratch)
	.set _ZL18flash_attn_ext_vecILi64ELi1EL9ggml_type7ELS0_7ELb1EEvPKcS2_S2_S2_S2_PKiPfP15HIP_vector_typeIfLj2EEffffjfiS6_IjLj3EEiiiiiiiiiiiliiliiiiil.has_dyn_sized_stack, or(0, .L_ZL14no_device_codePKciS0_iS0_.has_dyn_sized_stack)
	.set _ZL18flash_attn_ext_vecILi64ELi1EL9ggml_type7ELS0_7ELb1EEvPKcS2_S2_S2_S2_PKiPfP15HIP_vector_typeIfLj2EEffffjfiS6_IjLj3EEiiiiiiiiiiiliiliiiiil.has_recursion, or(0, .L_ZL14no_device_codePKciS0_iS0_.has_recursion)
	.set _ZL18flash_attn_ext_vecILi64ELi1EL9ggml_type7ELS0_7ELb1EEvPKcS2_S2_S2_S2_PKiPfP15HIP_vector_typeIfLj2EEffffjfiS6_IjLj3EEiiiiiiiiiiiliiliiiiil.has_indirect_call, or(0, .L_ZL14no_device_codePKciS0_iS0_.has_indirect_call)
	.section	.AMDGPU.csdata,"",@progbits
; Kernel info:
; codeLenInByte = 40
; TotalNumSgprs: 40
; NumVgprs: 52
; NumAgprs: 0
; TotalNumVgprs: 52
; ScratchSize: 16
; MemoryBound: 0
; FloatMode: 240
; IeeeMode: 1
; LDSByteSize: 0 bytes/workgroup (compile time only)
; SGPRBlocks: 4
; VGPRBlocks: 6
; NumSGPRsForWavesPerEU: 40
; NumVGPRsForWavesPerEU: 52
; AccumOffset: 52
; Occupancy: 8
; WaveLimiterHint : 1
; COMPUTE_PGM_RSRC2:SCRATCH_EN: 1
; COMPUTE_PGM_RSRC2:USER_SGPR: 2
; COMPUTE_PGM_RSRC2:TRAP_HANDLER: 0
; COMPUTE_PGM_RSRC2:TGID_X_EN: 1
; COMPUTE_PGM_RSRC2:TGID_Y_EN: 0
; COMPUTE_PGM_RSRC2:TGID_Z_EN: 0
; COMPUTE_PGM_RSRC2:TIDIG_COMP_CNT: 0
; COMPUTE_PGM_RSRC3_GFX90A:ACCUM_OFFSET: 12
; COMPUTE_PGM_RSRC3_GFX90A:TG_SPLIT: 0
	.section	.text._ZL18flash_attn_ext_vecILi64ELi2EL9ggml_type7ELS0_7ELb0EEvPKcS2_S2_S2_S2_PKiPfP15HIP_vector_typeIfLj2EEffffjfiS6_IjLj3EEiiiiiiiiiiiliiliiiiil,"axG",@progbits,_ZL18flash_attn_ext_vecILi64ELi2EL9ggml_type7ELS0_7ELb0EEvPKcS2_S2_S2_S2_PKiPfP15HIP_vector_typeIfLj2EEffffjfiS6_IjLj3EEiiiiiiiiiiiliiliiiiil,comdat
	.globl	_ZL18flash_attn_ext_vecILi64ELi2EL9ggml_type7ELS0_7ELb0EEvPKcS2_S2_S2_S2_PKiPfP15HIP_vector_typeIfLj2EEffffjfiS6_IjLj3EEiiiiiiiiiiiliiliiiiil ; -- Begin function _ZL18flash_attn_ext_vecILi64ELi2EL9ggml_type7ELS0_7ELb0EEvPKcS2_S2_S2_S2_PKiPfP15HIP_vector_typeIfLj2EEffffjfiS6_IjLj3EEiiiiiiiiiiiliiliiiiil
	.p2align	8
	.type	_ZL18flash_attn_ext_vecILi64ELi2EL9ggml_type7ELS0_7ELb0EEvPKcS2_S2_S2_S2_PKiPfP15HIP_vector_typeIfLj2EEffffjfiS6_IjLj3EEiiiiiiiiiiiliiliiiiil,@function
_ZL18flash_attn_ext_vecILi64ELi2EL9ggml_type7ELS0_7ELb0EEvPKcS2_S2_S2_S2_PKiPfP15HIP_vector_typeIfLj2EEffffjfiS6_IjLj3EEiiiiiiiiiiiliiliiiiil: ; @_ZL18flash_attn_ext_vecILi64ELi2EL9ggml_type7ELS0_7ELb0EEvPKcS2_S2_S2_S2_PKiPfP15HIP_vector_typeIfLj2EEffffjfiS6_IjLj3EEiiiiiiiiiiiliiliiiiil
; %bb.0:
	s_load_dwordx2 s[34:35], s[2:3], 0x64
	s_load_dwordx2 s[54:55], s[2:3], 0x80
	s_load_dwordx2 s[10:11], s[2:3], 0xb8
	v_mov_b32_e32 v122, 1.0
	s_waitcnt lgkmcnt(0)
	v_cvt_f32_u32_e32 v1, s35
	s_sub_i32 s7, 0, s35
	v_rcp_iflag_f32_e32 v1, v1
	s_nop 0
	v_mul_f32_e32 v1, 0x4f7ffffe, v1
	v_cvt_u32_f32_e32 v1, v1
	s_nop 0
	v_readfirstlane_b32 s8, v1
	s_mul_i32 s7, s7, s8
	s_mul_hi_u32 s7, s8, s7
	s_add_i32 s8, s8, s7
	s_mul_hi_u32 s7, s6, s8
	s_mul_i32 s8, s7, s35
	s_sub_i32 s8, s6, s8
	s_add_i32 s9, s7, 1
	s_sub_i32 s12, s8, s35
	s_cmp_ge_u32 s8, s35
	s_cselect_b32 s7, s9, s7
	s_cselect_b32 s8, s12, s8
	s_add_i32 s9, s7, 1
	s_cmp_ge_u32 s8, s35
	s_cselect_b32 s70, s9, s7
	s_abs_i32 s7, s55
	v_cvt_f32_u32_e32 v1, s7
	s_mul_i32 s12, s70, s35
	s_sub_i32 s13, 0, s7
	s_sub_i32 s36, s6, s12
	v_rcp_iflag_f32_e32 v1, v1
	s_abs_i32 s9, s35
	s_xor_b32 s8, s35, s55
	s_ashr_i32 s8, s8, 31
	v_mul_f32_e32 v1, 0x4f7ffffe, v1
	v_cvt_u32_f32_e32 v1, v1
	s_nop 0
	v_readfirstlane_b32 s6, v1
	s_mul_i32 s13, s13, s6
	s_mul_hi_u32 s12, s6, s13
	s_add_i32 s6, s6, s12
	s_mul_hi_u32 s6, s9, s6
	s_mul_i32 s12, s6, s7
	s_sub_i32 s9, s9, s12
	s_add_i32 s13, s6, 1
	s_sub_i32 s12, s9, s7
	s_cmp_ge_u32 s9, s7
	s_cselect_b32 s6, s13, s6
	s_cselect_b32 s9, s12, s9
	s_add_i32 s12, s6, 1
	s_cmp_ge_u32 s9, s7
	s_cselect_b32 s6, s12, s6
	s_xor_b32 s6, s6, s8
	s_sub_i32 s41, s6, s8
	s_abs_i32 s10, s10
	s_abs_i32 s40, s41
	v_cvt_f32_u32_e32 v1, s10
	v_cvt_f32_u32_e32 v2, s40
	s_load_dwordx4 s[12:15], s[2:3], 0x40
	s_load_dword s6, s[2:3], 0x50
	v_rcp_iflag_f32_e32 v1, v1
	v_rcp_iflag_f32_e32 v2, v2
	s_waitcnt lgkmcnt(0)
	v_cmp_le_f32_e64 s[8:9], s13, 0
	s_and_b64 vcc, exec, s[8:9]
	v_mul_f32_e32 v1, 0x4f7ffffe, v1
	v_mul_f32_e32 v2, 0x4f7ffffe, v2
	v_cvt_u32_f32_e32 v1, v1
	v_cvt_u32_f32_e32 v2, v2
	v_readfirstlane_b32 s13, v1
	v_readfirstlane_b32 s42, v2
	s_cbranch_vccnz .LBB9_2
; %bb.1:
	v_mov_b32_e32 v1, s6
	v_sub_co_u32_e32 v1, vcc, s36, v1
	v_mov_b32_e32 v2, s15
	v_mov_b32_e32 v3, s14
	s_add_i32 s6, s36, 1
	v_lshlrev_b32_e32 v1, 1, v1
	v_cndmask_b32_e32 v2, v2, v3, vcc
	v_or_b32_e32 v1, 1, v1
	v_mov_b32_e32 v3, s6
	v_cndmask_b32_e32 v1, v1, v3, vcc
	v_cvt_f32_i32_e32 v1, v1
	v_cmp_neq_f32_e32 vcc, 1.0, v2
	s_mov_b32 s6, 0x3f2aaaab
	s_movk_i32 s8, 0x204
	v_cndmask_b32_e32 v1, 1.0, v1, vcc
	v_cmp_neq_f32_e32 vcc, 0, v1
	s_mov_b32 s7, 0x42b17218
	s_mov_b32 s9, 0x3fb8aa3b
	v_cndmask_b32_e32 v18, 1.0, v2, vcc
	v_frexp_mant_f32_e64 v2, |v18|
	v_cmp_gt_f32_e32 vcc, s6, v2
	s_mov_b32 s6, 0x3f317218
	s_brev_b32 s16, -2
	v_cndmask_b32_e64 v3, 1.0, 2.0, vcc
	v_mul_f32_e32 v2, v2, v3
	v_add_f32_e32 v5, 1.0, v2
	v_rcp_f32_e32 v10, v5
	v_add_f32_e32 v3, -1.0, v5
	v_sub_f32_e32 v7, v2, v3
	v_add_f32_e32 v3, -1.0, v2
	v_mul_f32_e32 v11, v3, v10
	v_mul_f32_e32 v4, v5, v11
	v_fma_f32 v6, v11, v5, -v4
	v_fmac_f32_e32 v6, v11, v7
	v_add_f32_e32 v2, v4, v6
	v_sub_f32_e32 v5, v3, v2
	v_pk_add_f32 v[8:9], v[2:3], v[4:5] neg_lo:[0,1] neg_hi:[0,1]
	v_mov_b32_e32 v7, v2
	v_pk_add_f32 v[2:3], v[8:9], v[6:7] neg_lo:[0,1] neg_hi:[0,1]
	v_mov_b32_e32 v6, 0x3e91f4c4
	v_add_f32_e32 v2, v2, v3
	v_add_f32_e32 v2, v5, v2
	v_mul_f32_e32 v3, v10, v2
	v_add_f32_e32 v2, v11, v3
	v_sub_f32_e32 v4, v2, v11
	v_sub_f32_e32 v12, v3, v4
	v_mul_f32_e32 v3, v2, v2
	v_fma_f32 v5, v2, v2, -v3
	v_add_f32_e32 v4, v12, v12
	v_fmac_f32_e32 v5, v2, v4
	v_add_f32_e32 v4, v3, v5
	v_fmac_f32_e32 v6, 0x3e76c4e1, v4
	v_fmaak_f32 v6, v4, v6, 0x3ecccdef
	v_sub_f32_e32 v3, v4, v3
	v_sub_f32_e32 v13, v5, v3
	v_mul_f32_e32 v3, v4, v6
	v_fma_f32 v5, v4, v6, -v3
	v_fmac_f32_e32 v5, v13, v6
	v_add_f32_e32 v6, v3, v5
	v_add_f32_e32 v7, 0x3f2aaaaa, v6
	v_sub_f32_e32 v3, v6, v3
	v_sub_f32_e32 v3, v5, v3
	v_add_f32_e32 v5, 0xbf2aaaaa, v7
	v_add_f32_e32 v3, 0x31739010, v3
	v_sub_f32_e32 v5, v6, v5
	v_pk_mul_f32 v[8:9], v[2:3], v[4:5]
	v_pk_add_f32 v[10:11], v[2:3], v[4:5]
	v_fma_f32 v6, v4, v2, -v8
	v_fmac_f32_e32 v6, v4, v12
	v_mov_b32_e32 v9, v11
	v_fmac_f32_e32 v6, v13, v2
	v_pk_add_f32 v[4:5], v[8:9], v[6:7]
	v_ldexp_f32 v14, v12, 1
	v_sub_f32_e32 v3, v4, v8
	v_sub_f32_e32 v3, v6, v3
	;; [unrolled: 1-line block ×3, first 2 shown]
	v_add_f32_e32 v9, v11, v6
	v_pk_mul_f32 v[6:7], v[4:5], v[4:5] op_sel:[0,1] op_sel_hi:[1,0]
	v_cvt_f64_f32_e64 v[10:11], |v18|
	v_frexp_exp_i32_f64_e32 v7, v[10:11]
	v_subbrev_co_u32_e32 v7, vcc, 0, v7, vcc
	v_cvt_f32_i32_e32 v7, v7
	v_fma_f32 v8, v4, v5, -v6
	v_fmac_f32_e32 v8, v4, v9
	v_fmac_f32_e32 v8, v3, v5
	v_mul_f32_e32 v4, 0x3f317218, v7
	v_fma_f32 v3, v7, s6, -v4
	v_fmamk_f32 v10, v7, 0xb102e308, v3
	v_ldexp_f32 v11, v2, 1
	v_add_f32_e32 v5, v6, v8
	v_pk_add_f32 v[2:3], v[4:5], v[10:11]
	v_mov_b32_e32 v12, v5
	v_mov_b32_e32 v13, v3
	;; [unrolled: 1-line block ×3, first 2 shown]
	v_pk_add_f32 v[6:7], v[12:13], v[6:7] neg_lo:[0,1] neg_hi:[0,1]
	v_mov_b32_e32 v9, v5
	v_pk_add_f32 v[6:7], v[8:9], v[6:7] neg_lo:[0,1] neg_hi:[0,1]
	v_mov_b32_e32 v11, v2
	v_add_f32_e32 v5, v14, v6
	v_add_f32_e32 v5, v5, v7
	v_pk_add_f32 v[6:7], v[2:3], v[4:5] neg_lo:[0,1] neg_hi:[0,1]
	v_pk_add_f32 v[8:9], v[2:3], v[4:5]
	v_mov_b32_e32 v16, v3
	v_mov_b32_e32 v7, v9
	v_pk_add_f32 v[12:13], v[10:11], v[6:7] neg_lo:[0,1] neg_hi:[0,1]
	v_pk_add_f32 v[6:7], v[10:11], v[6:7]
	v_mov_b32_e32 v4, v5
	v_pk_add_f32 v[10:11], v[6:7], v[2:3] op_sel:[1,0] op_sel_hi:[0,1] neg_lo:[0,1] neg_hi:[0,1]
	v_pk_add_f32 v[14:15], v[8:9], v[10:11] op_sel_hi:[1,0] neg_lo:[0,1] neg_hi:[0,1]
	v_mov_b32_e32 v8, v9
	v_mov_b32_e32 v9, v7
	;; [unrolled: 1-line block ×3, first 2 shown]
	v_pk_add_f32 v[8:9], v[8:9], v[16:17] neg_lo:[0,1] neg_hi:[0,1]
	v_mov_b32_e32 v5, v2
	v_pk_add_f32 v[2:3], v[4:5], v[8:9] neg_lo:[0,1] neg_hi:[0,1]
	v_mov_b32_e32 v14, v12
	v_pk_add_f32 v[4:5], v[14:15], v[2:3]
	v_mov_b32_e32 v13, v7
	v_pk_add_f32 v[8:9], v[4:5], v[4:5] op_sel:[0,1] op_sel_hi:[1,0]
	s_mov_b32 s6, 0x7f800000
	v_pk_add_f32 v[6:7], v[6:7], v[8:9] op_sel:[1,0] op_sel_hi:[0,1]
	v_mov_b32_e32 v5, v6
	v_pk_add_f32 v[10:11], v[4:5], v[12:13] neg_lo:[0,1] neg_hi:[0,1]
	v_mov_b32_e32 v3, v8
	v_sub_f32_e32 v4, v4, v10
	v_pk_add_f32 v[2:3], v[2:3], v[10:11] neg_lo:[0,1] neg_hi:[0,1]
	v_sub_f32_e32 v4, v12, v4
	v_add_f32_e32 v2, v2, v4
	v_add_f32_e32 v2, v2, v3
	;; [unrolled: 1-line block ×3, first 2 shown]
	v_sub_f32_e32 v4, v3, v6
	v_sub_f32_e32 v2, v2, v4
	v_mul_f32_e32 v4, v1, v3
	v_fma_f32 v3, v1, v3, -v4
	v_fmac_f32_e32 v3, v1, v2
	v_add_f32_e32 v2, v4, v3
	v_cmp_class_f32_e64 vcc, v4, s8
	v_sub_f32_e32 v5, v2, v4
	v_sub_f32_e32 v3, v3, v5
	v_cndmask_b32_e32 v2, v2, v4, vcc
	v_mov_b32_e32 v4, 0x37000000
	v_cmp_eq_f32_e32 vcc, s7, v2
	v_cmp_class_f32_e64 s[14:15], v18, s8
	s_nop 0
	v_cndmask_b32_e32 v4, 0, v4, vcc
	v_sub_f32_e32 v5, v2, v4
	v_mul_f32_e32 v6, 0x3fb8aa3b, v5
	v_fma_f32 v7, v5, s9, -v6
	v_rndne_f32_e32 v8, v6
	v_fmamk_f32 v7, v5, 0x32a5705f, v7
	v_sub_f32_e32 v6, v6, v8
	v_add_f32_e32 v6, v6, v7
	v_exp_f32_e32 v6, v6
	v_cvt_i32_f32_e32 v7, v8
	v_cmp_neq_f32_e64 vcc, |v2|, s6
	s_mov_b32 s6, 0xc2ce8ed0
	s_nop 0
	v_cndmask_b32_e32 v2, 0, v3, vcc
	v_ldexp_f32 v3, v6, v7
	v_cmp_ngt_f32_e32 vcc, s6, v5
	v_add_f32_e32 v2, v4, v2
	v_mov_b32_e32 v4, 0x7f800000
	v_cndmask_b32_e32 v3, 0, v3, vcc
	v_cmp_nlt_f32_e32 vcc, s7, v5
	v_mov_b32_e32 v5, 0x7fc00000
	s_nop 0
	v_cndmask_b32_e32 v3, v4, v3, vcc
	v_fma_f32 v2, v3, v2, v3
	v_cmp_class_f32_e64 vcc, v3, s8
	v_cmp_gt_f32_e64 s[8:9], 0, v1
	s_nop 0
	v_cndmask_b32_e32 v2, v2, v3, vcc
	v_trunc_f32_e32 v3, v1
	v_cmp_eq_f32_e32 vcc, v3, v1
	v_mul_f32_e32 v3, 0.5, v1
	v_trunc_f32_e32 v6, v3
	v_cmp_neq_f32_e64 s[6:7], v6, v3
	s_and_b64 s[6:7], vcc, s[6:7]
	s_nop 0
	v_cndmask_b32_e64 v3, 1.0, v18, s[6:7]
	v_bfi_b32 v2, s16, v2, v3
	v_cndmask_b32_e32 v3, v5, v2, vcc
	v_cmp_gt_f32_e32 vcc, 0, v18
	s_nop 1
	v_cndmask_b32_e32 v2, v2, v3, vcc
	v_cmp_eq_f32_e32 vcc, 0, v18
	s_xor_b64 s[8:9], s[8:9], vcc
	v_cndmask_b32_e64 v1, v4, 0, s[8:9]
	v_cndmask_b32_e64 v3, 0, v18, s[6:7]
	v_bfi_b32 v1, s16, v1, v3
	s_or_b64 vcc, vcc, s[14:15]
	v_cndmask_b32_e32 v1, v2, v1, vcc
	v_cmp_o_f32_e32 vcc, v18, v18
	s_nop 1
	v_cndmask_b32_e32 v122, v5, v1, vcc
.LBB9_2:
	s_load_dwordx2 s[6:7], s[0:1], 0x4
	s_load_dwordx16 s[16:31], s[2:3], 0x0
	v_bfe_u32 v117, v0, 10, 10
	v_and_b32_e32 v116, 0x3ff, v0
	v_bfe_u32 v0, v0, 20, 10
	s_waitcnt lgkmcnt(0)
	s_lshr_b32 s0, s6, 16
	v_mul_u32_u24_e32 v1, s7, v117
	s_mul_i32 s0, s0, s7
	v_mad_u32_u24 v1, s0, v116, v1
	v_add_lshl_u32 v8, v1, v0, 4
	v_mov_b32_e32 v13, 0
	v_add_u32_e32 v0, 0x604, v8
	s_lshl_b32 s33, s4, 1
	ds_write2_b32 v0, v13, v13 offset1:1
	v_add_u32_e32 v0, 0x400, v8
	v_cmp_lt_u32_e64 s[0:1], 1, v117
	v_cmp_gt_u32_e32 vcc, 2, v117
	v_lshlrev_b32_e32 v121, 2, v116
	ds_write2_b32 v0, v13, v13 offset0:128 offset1:131
	s_and_saveexec_b64 s[8:9], vcc
	s_cbranch_execz .LBB9_23
; %bb.3:
	v_lshlrev_b32_e32 v5, 7, v117
	v_or_b32_e32 v0, s33, v117
	v_cmp_le_i32_e64 s[6:7], s34, v0
	v_cmp_gt_u32_e32 vcc, 16, v116
	v_add_u32_e32 v4, v5, v121
	s_and_saveexec_b64 s[14:15], s[6:7]
	s_xor_b64 s[14:15], exec, s[14:15]
	s_cbranch_execz .LBB9_9
; %bb.4:
	s_and_saveexec_b64 s[6:7], vcc
; %bb.5:
	v_mov_b32_e32 v0, 0
	ds_write_b32 v4, v0
; %bb.6:
	s_or_b64 exec, exec, s[6:7]
	v_cmp_gt_u32_e64 s[6:7], 2, v116
	s_and_saveexec_b64 s[38:39], s[6:7]
; %bb.7:
	v_mov_b32_e32 v2, 0
	v_add_u32_e32 v0, v4, v121
	v_mov_b32_e32 v3, v2
	ds_write_b64 v0, v[2:3] offset:64
; %bb.8:
	s_or_b64 exec, exec, s[38:39]
                                        ; implicit-def: $vgpr4
                                        ; implicit-def: $vgpr5
.LBB9_9:
	s_andn2_saveexec_b64 s[6:7], s[14:15]
	s_cbranch_execz .LBB9_23
; %bb.10:
	s_load_dwordx4 s[44:47], s[2:3], 0x70
	v_mov_b32_e32 v9, 0
	s_waitcnt lgkmcnt(0)
	s_mul_i32 s6, s70, s46
	s_mul_i32 s14, s44, s33
	;; [unrolled: 1-line block ×3, first 2 shown]
	s_add_i32 s6, s6, s14
	s_add_i32 s6, s6, s7
	s_ashr_i32 s7, s6, 31
	v_mul_lo_u32 v0, s44, v117
	s_add_u32 s6, s16, s6
	v_ashrrev_i32_e32 v1, 31, v0
	s_addc_u32 s7, s17, s7
	v_lshl_add_u64 v[2:3], s[6:7], 0, v[0:1]
	v_lshlrev_b32_e32 v0, 2, v121
	v_mov_b32_e32 v1, 0
	v_lshl_add_u64 v[2:3], v[2:3], 0, v[0:1]
	s_and_saveexec_b64 s[6:7], vcc
	s_cbranch_execz .LBB9_12
; %bb.11:
	global_load_dword v0, v[2:3], off
	s_waitcnt vmcnt(0)
	v_mul_f32_e32 v9, s12, v0
.LBB9_12:
	s_or_b64 exec, exec, s[6:7]
	s_and_saveexec_b64 s[6:7], vcc
	s_cbranch_execz .LBB9_14
; %bb.13:
	global_load_dword v0, v[2:3], off offset:4
	s_waitcnt vmcnt(0)
	v_mul_f32_e32 v1, s12, v0
.LBB9_14:
	s_or_b64 exec, exec, s[6:7]
	v_mov_b32_e32 v6, 0
	v_mov_b32_e32 v7, 0
	s_and_saveexec_b64 s[6:7], vcc
	s_cbranch_execz .LBB9_16
; %bb.15:
	global_load_dword v0, v[2:3], off offset:8
	s_waitcnt vmcnt(0)
	v_mul_f32_e32 v7, s12, v0
.LBB9_16:
	s_or_b64 exec, exec, s[6:7]
	s_and_saveexec_b64 s[6:7], vcc
	s_cbranch_execz .LBB9_18
; %bb.17:
	global_load_dword v0, v[2:3], off offset:12
	s_waitcnt vmcnt(0)
	v_mul_f32_e32 v6, s12, v0
.LBB9_18:
	s_or_b64 exec, exec, s[6:7]
	v_mbcnt_lo_u32_b32 v0, -1, 0
	v_mbcnt_hi_u32_b32 v0, -1, v0
	v_and_b32_e32 v2, 0x60, v0
	v_add_u32_e32 v2, 32, v2
	v_xor_b32_e32 v3, 4, v0
	v_cmp_lt_i32_e32 vcc, v3, v2
	v_max_f32_e64 v11, |v1|, |v1|
	v_max_f32_e64 v12, |v9|, |v9|
	v_cndmask_b32_e32 v3, v0, v3, vcc
	v_max_f32_e32 v11, v12, v11
	v_lshlrev_b32_e32 v3, 2, v3
	v_max3_f32 v11, v11, |v7|, |v6|
	ds_bpermute_b32 v12, v3, v11
	v_xor_b32_e32 v10, 2, v0
	v_cmp_lt_i32_e32 vcc, v10, v2
	v_xor_b32_e32 v14, 1, v0
	s_mov_b32 s12, 0x42fe0000
	v_cndmask_b32_e32 v10, v0, v10, vcc
	v_cmp_lt_i32_e32 vcc, v14, v2
	s_waitcnt lgkmcnt(0)
	v_max_f32_e32 v2, v12, v12
	v_lshlrev_b32_e32 v10, 2, v10
	v_max_f32_e32 v2, v11, v2
	ds_bpermute_b32 v11, v10, v2
	v_add_f32_e32 v12, v9, v1
	v_add_f32_e32 v12, v12, v7
	v_cndmask_b32_e32 v0, v0, v14, vcc
	v_add_f32_e32 v12, v12, v6
	s_waitcnt lgkmcnt(0)
	v_max_f32_e32 v11, v11, v11
	v_lshlrev_b32_e32 v0, 2, v0
	ds_bpermute_b32 v3, v3, v12
	v_max_f32_e32 v2, v2, v11
	ds_bpermute_b32 v11, v0, v2
	s_waitcnt lgkmcnt(1)
	v_add_f32_e32 v3, v12, v3
	ds_bpermute_b32 v12, v10, v3
	s_waitcnt lgkmcnt(1)
	v_max_f32_e32 v10, v11, v11
	v_max_f32_e32 v11, v2, v10
	v_div_scale_f32 v14, s[6:7], s12, s12, v11
	v_rcp_f32_e32 v15, v14
	s_waitcnt lgkmcnt(0)
	v_add_f32_e32 v2, v3, v12
	ds_bpermute_b32 v3, v0, v2
	v_mov_b32_e32 v10, 0
	v_fma_f32 v0, -v14, v15, 1.0
	v_fmac_f32_e32 v15, v0, v15
	v_div_scale_f32 v0, vcc, v11, s12, v11
	v_mul_f32_e32 v12, v0, v15
	v_fma_f32 v16, -v14, v12, v0
	v_fmac_f32_e32 v12, v16, v15
	v_fma_f32 v0, -v14, v12, v0
	v_div_fmas_f32 v0, v0, v15, v12
	v_div_fixup_f32 v0, v0, s12, v11
	v_cmp_neq_f32_e32 vcc, 0, v0
	s_and_saveexec_b64 s[6:7], vcc
	s_cbranch_execz .LBB9_20
; %bb.19:
	v_div_scale_f32 v10, s[14:15], v0, v0, v9
	v_rcp_f32_e32 v11, v10
	v_div_scale_f32 v12, vcc, v9, v0, v9
	s_brev_b32 s12, -2
	v_fma_f32 v14, -v10, v11, 1.0
	v_fmac_f32_e32 v11, v14, v11
	v_mul_f32_e32 v14, v12, v11
	v_fma_f32 v15, -v10, v14, v12
	v_fmac_f32_e32 v14, v15, v11
	v_fma_f32 v10, -v10, v14, v12
	v_div_fmas_f32 v10, v10, v11, v14
	v_div_fixup_f32 v9, v10, v0, v9
	v_trunc_f32_e32 v10, v9
	v_sub_f32_e32 v11, v9, v10
	v_cmp_ge_f32_e64 s[14:15], |v11|, 0.5
	s_nop 1
	v_cndmask_b32_e64 v11, 0, 1.0, s[14:15]
	v_div_scale_f32 v12, s[14:15], v0, v0, v1
	v_rcp_f32_e32 v14, v12
	v_bfi_b32 v9, s12, v11, v9
	v_add_f32_e32 v9, v10, v9
	v_cvt_i32_f32_e32 v9, v9
	v_fma_f32 v10, -v12, v14, 1.0
	v_fmac_f32_e32 v14, v10, v14
	v_div_scale_f32 v10, vcc, v1, v0, v1
	v_mul_f32_e32 v11, v10, v14
	v_fma_f32 v15, -v12, v11, v10
	v_fmac_f32_e32 v11, v15, v14
	v_fma_f32 v10, -v12, v11, v10
	v_div_fmas_f32 v10, v10, v14, v11
	v_div_fixup_f32 v1, v10, v0, v1
	v_trunc_f32_e32 v10, v1
	v_div_scale_f32 v12, s[14:15], v0, v0, v7
	v_sub_f32_e32 v11, v1, v10
	v_rcp_f32_e32 v14, v12
	v_cmp_ge_f32_e64 s[14:15], |v11|, 0.5
	s_nop 1
	v_cndmask_b32_e64 v11, 0, 1.0, s[14:15]
	v_bfi_b32 v1, s12, v11, v1
	v_add_f32_e32 v1, v10, v1
	v_fma_f32 v10, -v12, v14, 1.0
	v_fmac_f32_e32 v14, v10, v14
	v_div_scale_f32 v10, vcc, v7, v0, v7
	v_mul_f32_e32 v11, v10, v14
	v_fma_f32 v15, -v12, v11, v10
	v_fmac_f32_e32 v11, v15, v14
	v_fma_f32 v10, -v12, v11, v10
	v_div_fmas_f32 v10, v10, v14, v11
	v_div_fixup_f32 v7, v10, v0, v7
	v_trunc_f32_e32 v10, v7
	v_sub_f32_e32 v11, v7, v10
	v_cmp_ge_f32_e64 s[14:15], |v11|, 0.5
	v_cvt_i32_f32_e32 v1, v1
	s_nop 0
	v_cndmask_b32_e64 v11, 0, 1.0, s[14:15]
	v_div_scale_f32 v12, s[14:15], v0, v0, v6
	v_rcp_f32_e32 v14, v12
	v_bfi_b32 v7, s12, v11, v7
	v_add_f32_e32 v7, v10, v7
	v_cvt_i32_f32_e32 v7, v7
	v_fma_f32 v10, -v12, v14, 1.0
	v_fmac_f32_e32 v14, v10, v14
	v_div_scale_f32 v10, vcc, v6, v0, v6
	v_mul_f32_e32 v11, v10, v14
	v_fma_f32 v15, -v12, v11, v10
	v_fmac_f32_e32 v11, v15, v14
	v_fma_f32 v10, -v12, v11, v10
	v_div_fmas_f32 v10, v10, v14, v11
	v_div_fixup_f32 v6, v10, v0, v6
	v_trunc_f32_e32 v10, v6
	v_sub_f32_e32 v11, v6, v10
	v_cmp_ge_f32_e64 s[14:15], |v11|, 0.5
	v_and_b32_e32 v7, 0xff, v7
	v_lshlrev_b32_e32 v7, 16, v7
	v_cndmask_b32_e64 v11, 0, 1.0, s[14:15]
	v_bfi_b32 v6, s12, v11, v6
	v_add_f32_e32 v6, v10, v6
	v_cvt_i32_f32_e32 v6, v6
	v_lshl_or_b32 v6, v6, 24, v7
	v_mov_b32_e32 v7, 8
	v_lshlrev_b32_sdwa v1, v7, v1 dst_sel:DWORD dst_unused:UNUSED_PAD src0_sel:DWORD src1_sel:BYTE_0
	v_and_b32_e32 v7, 0xff, v9
	v_or3_b32 v10, v6, v1, v7
.LBB9_20:
	s_or_b64 exec, exec, s[6:7]
	v_and_b32_e32 v1, 0x77, v116
	v_cmp_eq_u32_e32 vcc, 0, v1
	ds_write_b32 v4, v10
	s_and_saveexec_b64 s[6:7], vcc
	s_cbranch_execz .LBB9_22
; %bb.21:
	s_waitcnt lgkmcnt(1)
	v_add_f32_e32 v1, v2, v3
	v_add_u32_e32 v2, v5, v116
	ds_write_b64 v2, v[0:1] offset:64
.LBB9_22:
	s_or_b64 exec, exec, s[6:7]
.LBB9_23:
	s_or_b64 exec, exec, s[8:9]
	v_and_b32_e32 v10, 3, v116
	v_lshlrev_b32_e32 v14, 2, v10
	s_waitcnt lgkmcnt(0)
	s_barrier
	ds_read2_b32 v[16:17], v14 offset1:4
	ds_read2_b32 v[18:19], v14 offset0:8 offset1:12
	ds_read2_b32 v[20:21], v14 offset0:32 offset1:36
	ds_read_b128 v[0:3], v13 offset:64
	ds_read_b128 v[4:7], v13 offset:192
	ds_read2_b32 v[22:23], v14 offset0:40 offset1:44
	s_cmp_eq_u64 s[26:27], 0
	s_mov_b32 s37, s54
	s_waitcnt lgkmcnt(0)
	s_barrier
	s_cbranch_scc1 .LBB9_25
; %bb.24:
	s_load_dword s6, s[2:3], 0xd0
	s_mov_b32 s7, 0
	s_waitcnt lgkmcnt(0)
	s_mul_i32 s6, s6, s70
	s_add_i32 s6, s6, s4
	s_lshl_b64 s[6:7], s[6:7], 2
	s_add_u32 s6, s26, s6
	s_addc_u32 s7, s27, s7
	s_load_dword s37, s[6:7], 0x0
.LBB9_25:
	v_lshlrev_b32_e32 v11, 5, v117
	v_add_u32_e32 v118, v11, v116
	s_lshl_b32 s26, s5, 7
	v_add_u32_e32 v120, 0x600, v8
	s_waitcnt lgkmcnt(0)
	s_cmp_ge_i32 s26, s37
	v_mbcnt_lo_u32_b32 v123, -1, 0
	v_lshlrev_b32_e32 v119, 1, v118
	s_cbranch_scc1 .LBB9_45
; %bb.26:
	s_sub_i32 s6, 0, s10
	s_mul_i32 s6, s6, s13
	s_mul_hi_u32 s6, s13, s6
	s_abs_i32 s9, s70
	s_add_i32 s13, s13, s6
	s_sub_i32 s4, 0, s40
	s_mul_hi_u32 s27, s9, s13
	s_load_dwordx2 s[60:61], s[2:3], 0x8c
	s_load_dwordx4 s[12:15], s[2:3], 0x98
	s_mul_i32 s4, s4, s42
	s_mul_hi_u32 s4, s42, s4
	s_abs_i32 s7, s36
	s_add_i32 s42, s42, s4
	s_mul_hi_u32 s6, s7, s42
	s_ashr_i32 s38, s36, 31
	s_ashr_i32 s39, s41, 31
	;; [unrolled: 1-line block ×3, first 2 shown]
	s_waitcnt lgkmcnt(0)
	s_mul_i32 s13, s13, s70
	s_mul_i32 s71, s12, s8
	s_xor_b32 s38, s38, s39
	s_mul_i32 s39, s6, s40
	s_mul_hi_u32 s4, s12, s70
	s_add_i32 s71, s71, s13
	s_sub_i32 s7, s7, s39
	s_add_i32 s4, s71, s4
	s_add_i32 s39, s6, 1
	s_sub_i32 s41, s7, s40
	s_cmp_ge_u32 s7, s40
	s_cselect_b32 s6, s39, s6
	s_cselect_b32 s7, s41, s7
	s_add_i32 s39, s6, 1
	s_cmp_ge_u32 s7, s40
	s_cselect_b32 s6, s39, s6
	s_xor_b32 s6, s6, s38
	s_sub_i32 s6, s6, s38
	s_mul_i32 s27, s27, s10
	s_mul_i32 s58, s6, s61
	;; [unrolled: 1-line block ×3, first 2 shown]
	s_sub_i32 s6, s9, s27
	s_ashr_i32 s59, s58, 31
	s_ashr_i32 s57, s56, 31
	s_sub_i32 s7, s6, s10
	s_cmp_ge_u32 s6, s10
	s_cselect_b32 s6, s7, s6
	s_sub_i32 s7, s6, s10
	s_load_dwordx2 s[16:17], s[2:3], 0xc8
	s_cmp_ge_u32 s6, s10
	s_cselect_b32 s6, s7, s6
	s_xor_b32 s6, s6, s8
	s_sub_i32 s9, s6, s8
	s_ashr_i32 s10, s9, 31
	s_load_dword s15, s[2:3], 0xd4
	s_load_dwordx2 s[6:7], s[2:3], 0xa8
	s_waitcnt lgkmcnt(0)
	s_mul_i32 s10, s16, s10
	s_mul_hi_u32 s27, s16, s9
	s_add_i32 s10, s27, s10
	s_mul_i32 s17, s17, s9
	s_mul_i32 s38, s11, s33
	s_add_i32 s48, s10, s17
	s_ashr_i32 s39, s38, 31
	s_cmp_lg_u64 s[22:23], 0
	s_cselect_b64 s[10:11], -1, 0
	s_lshl_b32 s40, s15, 7
	s_cmp_lt_i32 s33, s34
	s_mul_i32 s9, s16, s9
	s_cselect_b64 s[16:17], -1, 0
	s_and_b64 s[42:43], s[10:11], s[16:17]
	s_or_b32 s15, s33, 1
	s_cmp_lt_i32 s15, s34
	s_cselect_b64 s[16:17], -1, 0
	s_and_b64 s[44:45], s[10:11], s[16:17]
	s_ashr_i32 s55, s54, 31
	s_mov_b32 s27, 0
	s_add_u32 s62, s18, s58
	s_addc_u32 s63, s19, s59
	s_lshl_b64 s[10:11], s[26:27], 1
	s_add_u32 s15, s22, s10
	s_addc_u32 s16, s23, s11
	s_mov_b32 s41, s27
	s_add_u32 s64, s15, s9
	s_mul_i32 s13, s12, s70
	s_addc_u32 s65, s16, s48
	s_lshl_b64 s[46:47], s[40:41], 1
	s_add_u32 s66, s62, s13
	s_addc_u32 s67, s63, s4
	s_add_u32 s9, s9, s10
	v_bfe_u32 v8, v116, 3, 1
	s_addc_u32 s10, s48, s11
	v_mov_b32_e32 v32, s70
	s_add_u32 s68, s22, s9
	v_mul_hi_u32_u24_e32 v9, 24, v8
	v_mul_u32_u24_e32 v8, 24, v8
	s_mul_i32 s7, s7, s70
	s_mul_i32 s8, s6, s8
	v_lshrrev_b32_e32 v30, 4, v116
	s_addc_u32 s69, s23, s10
	s_add_i32 s8, s8, s7
	v_mad_u64_u32 v[12:13], s[6:7], s6, v32, v[8:9]
	v_mov_b32_e32 v15, 0
	v_add_u32_e32 v31, v11, v30
	v_add_u32_e32 v13, s8, v13
	v_mul_lo_u32 v24, s14, v31
	v_lshl_add_u64 v[26:27], v[12:13], 0, v[14:15]
	v_lshl_add_u64 v[8:9], v[12:13], 0, s[56:57]
	v_ashrrev_i32_e32 v25, 31, v24
	v_lshl_add_u64 v[28:29], v[26:27], 0, s[56:57]
	v_lshl_add_u64 v[8:9], v[8:9], 0, v[24:25]
	;; [unrolled: 1-line block ×3, first 2 shown]
	v_add_u32_e32 v24, 2, v31
	v_mul_lo_u32 v24, s14, v24
	v_ashrrev_i32_e32 v25, 31, v24
	v_lshl_add_u64 v[50:51], v[12:13], 0, v[24:25]
	v_lshl_add_u64 v[54:55], v[26:27], 0, v[24:25]
	v_add_u32_e32 v24, 28, v31
	v_mul_lo_u32 v24, s14, v24
	v_ashrrev_i32_e32 v25, 31, v24
	v_lshl_add_u64 v[58:59], v[26:27], 0, v[24:25]
	v_lshl_add_u64 v[62:63], v[12:13], 0, v[24:25]
	;; [unrolled: 5-line block ×4, first 2 shown]
	v_add_u32_e32 v24, 22, v31
	v_add_u32_e32 v28, 30, v31
	v_mul_lo_u32 v24, s14, v24
	v_mul_lo_u32 v28, s14, v28
	v_ashrrev_i32_e32 v25, 31, v24
	v_ashrrev_i32_e32 v29, 31, v28
	v_lshl_add_u64 v[76:77], v[26:27], 0, v[24:25]
	v_lshl_add_u64 v[80:81], v[12:13], 0, v[24:25]
	v_add_u32_e32 v24, 20, v31
	v_lshl_add_u64 v[52:53], v[26:27], 0, v[28:29]
	v_lshl_add_u64 v[56:57], v[12:13], 0, v[28:29]
	v_add_u32_e32 v28, 4, v31
	v_mul_lo_u32 v24, s14, v24
	v_mul_lo_u32 v28, s14, v28
	v_ashrrev_i32_e32 v25, 31, v24
	v_ashrrev_i32_e32 v29, 31, v28
	v_lshl_add_u64 v[82:83], v[26:27], 0, v[24:25]
	v_lshl_add_u64 v[86:87], v[12:13], 0, v[24:25]
	v_add_u32_e32 v24, 18, v31
	v_lshl_add_u64 v[60:61], v[12:13], 0, v[28:29]
	v_lshl_add_u64 v[66:67], v[26:27], 0, v[28:29]
	;; [unrolled: 10-line block ×4, first 2 shown]
	v_add_u32_e32 v28, 10, v31
	v_mul_lo_u32 v24, s14, v24
	v_mul_lo_u32 v28, s14, v28
	v_ashrrev_i32_e32 v25, 31, v24
	v_ashrrev_i32_e32 v29, 31, v28
	v_lshl_add_u64 v[100:101], v[26:27], 0, v[24:25]
	v_lshl_add_u64 v[104:105], v[12:13], 0, v[24:25]
	v_add_u32_e32 v24, 12, v31
	v_cmp_eq_u32_e64 s[16:17], 0, v10
	v_cmp_eq_u32_e64 s[6:7], 1, v10
	v_cmp_eq_u32_e64 s[8:9], 2, v10
	v_cmp_eq_u32_e64 s[10:11], 3, v10
	v_mbcnt_hi_u32_b32 v10, -1, v123
	v_lshl_add_u64 v[96:97], v[12:13], 0, v[28:29]
	v_lshl_add_u64 v[102:103], v[26:27], 0, v[28:29]
	v_mul_lo_u32 v24, s14, v24
	v_and_b32_e32 v28, 0x7c, v10
	v_ashrrev_i32_e32 v25, 31, v24
	v_add_u32_e32 v28, 4, v28
	v_xor_b32_e32 v33, 2, v10
	v_lshl_add_u64 v[106:107], v[26:27], 0, v[24:25]
	v_lshl_add_u64 v[12:13], v[12:13], 0, v[24:25]
	v_and_b32_e32 v24, 0x60, v10
	v_xor_b32_e32 v29, 1, v10
	v_cmp_lt_i32_e32 vcc, v33, v28
	v_add_u32_e32 v24, 32, v24
	v_xor_b32_e32 v25, 4, v10
	v_cndmask_b32_e32 v33, v10, v33, vcc
	v_cmp_lt_i32_e32 vcc, v29, v28
	v_xor_b32_e32 v26, 8, v10
	v_xor_b32_e32 v27, 16, v10
	v_cndmask_b32_e32 v28, v10, v29, vcc
	v_cmp_lt_i32_e32 vcc, v25, v24
	s_mul_i32 s22, s14, s26
	s_mul_i32 s52, s40, s14
	v_cndmask_b32_e32 v25, v10, v25, vcc
	v_cmp_lt_i32_e32 vcc, v26, v24
	v_mad_u64_u32 v[44:45], s[14:15], s12, v32, v[14:15]
	s_nop 0
	v_cndmask_b32_e32 v34, v10, v26, vcc
	v_cmp_lt_i32_e32 vcc, v27, v24
	s_add_u32 s12, s13, s58
	s_addc_u32 s4, s4, s59
	v_cndmask_b32_e32 v24, v10, v27, vcc
	v_and_b32_e32 v10, 0x7c, v116
	v_add_u32_e32 v10, v11, v10
	v_mul_lo_u32 v48, v10, s60
	v_add_u32_e32 v40, s60, v48
	v_or_b32_e32 v30, v11, v30
	v_add_u32_e32 v36, s60, v40
	v_mov_b32_e32 v11, v15
	v_add_u32_e32 v45, s71, v45
	v_lshl_add_u64 v[8:9], s[20:21], 0, v[8:9]
	s_add_u32 s12, s18, s12
	v_lshlrev_b32_e32 v125, 2, v28
	v_ashrrev_i32_e32 v49, 31, v48
	v_add_u32_e32 v26, s54, v10
	v_ashrrev_i32_e32 v37, 31, v36
	v_add_u32_e32 v28, s60, v36
	v_lshlrev_b32_e32 v127, 2, v34
	v_lshl_add_u64 v[34:35], s[54:55], 0, v[10:11]
	v_lshlrev_b32_e32 v10, 1, v10
	v_lshl_add_u64 v[42:43], v[8:9], 0, 4
	v_lshl_add_u64 v[8:9], v[44:45], 0, s[58:59]
	s_addc_u32 s13, s19, s4
	v_ashrrev_i32_e32 v41, 31, v40
	v_ashrrev_i32_e32 v29, 31, v28
	v_lshlrev_b32_e32 v129, 1, v30
	v_lshlrev_b32_e32 v130, 1, v31
	v_lshl_add_u64 v[30:31], s[68:69], 0, v[10:11]
	v_lshl_add_u64 v[10:11], v[44:45], 0, v[36:37]
	;; [unrolled: 1-line block ×4, first 2 shown]
	s_add_u32 s12, s20, s56
	v_lshlrev_b32_e32 v124, 2, v33
	v_lshlrev_b32_e32 v126, 2, v25
	v_lshlrev_b32_e32 v128, 2, v24
	v_lshl_add_u64 v[24:25], v[44:45], 0, v[28:29]
	v_lshl_add_u64 v[32:33], s[62:63], 0, v[10:11]
	;; [unrolled: 1-line block ×5, first 2 shown]
	s_addc_u32 s13, s21, s57
	v_lshl_add_u64 v[46:47], v[8:9], 0, 8
	v_lshl_add_u64 v[8:9], s[12:13], 0, v[52:53]
	;; [unrolled: 1-line block ×52, first 2 shown]
	ds_read_b128 v[8:11], v120
	v_ashrrev_i32_e32 v27, 31, v26
	v_and_b32_e32 v131, 28, v121
	s_mov_b32 s23, s27
	s_mul_i32 s48, s60, s26
	s_mov_b32 s49, s27
	s_mul_i32 s50, s40, s60
	s_mov_b32 s51, s27
	s_mov_b32 s53, s27
	v_lshl_add_u64 v[24:25], s[62:63], 0, v[24:25]
	v_lshl_add_u64 v[26:27], v[26:27], 1, s[64:65]
	;; [unrolled: 1-line block ×11, first 2 shown]
	s_movk_i32 s4, 0x1000
	s_mov_b32 s18, 0x3fb8aa3b
	s_mov_b32 s19, 0xc2ce8ed0
	;; [unrolled: 1-line block ×4, first 2 shown]
	v_mov_b32_e32 v12, v15
	v_mov_b32_e32 v13, v15
	;; [unrolled: 1-line block ×4, first 2 shown]
	v_or_b32_e32 v15, 16, v14
	v_and_b32_e32 v132, 4, v116
	v_or_b32_e32 v133, 1, v131
	v_or_b32_e32 v134, 2, v131
	;; [unrolled: 1-line block ×3, first 2 shown]
	v_mov_b32_e32 v139, 0xfeffffff
	v_mov_b32_e32 v136, 0x7f800000
	v_mov_b32_e32 v137, 31
	v_mov_b32_e32 v138, 0xfeffffff
.LBB9_27:                               ; =>This Inner Loop Header: Depth=1
	v_lshl_add_u64 v[112:113], v[48:49], 0, s[48:49]
	v_lshl_add_u64 v[114:115], v[44:45], 0, s[48:49]
	global_load_dword v140, v[114:115], off offset:8
	global_load_dwordx2 v[142:143], v[112:113], off
	global_load_dword v144, v[114:115], off offset:32
	s_nop 0
	global_load_dwordx2 v[112:113], v[112:113], off offset:24
	v_mov_b32_e32 v147, 0
	v_mov_b32_e32 v148, 0
	;; [unrolled: 1-line block ×4, first 2 shown]
	s_and_b64 vcc, exec, s[42:43]
	s_waitcnt vmcnt(3)
	v_and_b32_e32 v145, 0xf0f0f0f, v140
	s_waitcnt vmcnt(2)
	v_ashrrev_i32_e32 v146, v14, v143
	v_ashrrev_i32_e32 v143, v15, v143
	v_lshrrev_b32_e32 v140, 4, v140
	s_waitcnt vmcnt(1)
	v_and_b32_e32 v149, 0xf0f0f0f, v144
	s_waitcnt vmcnt(0)
	v_cvt_f32_f16_e32 v114, v112
	v_cvt_f32_f16_sdwa v115, v112 dst_sel:DWORD dst_unused:UNUSED_PAD src0_sel:WORD_1
	v_lshrrev_b32_e32 v112, 4, v144
	v_lshlrev_b32_e32 v144, 4, v146
	v_lshlrev_b32_e32 v153, 11, v146
	;; [unrolled: 1-line block ×8, first 2 shown]
	v_ashrrev_i32_e32 v151, v14, v113
	v_ashrrev_i32_e32 v113, v15, v113
	v_and_b32_e32 v140, 0xf0f0f0f, v140
	v_and_b32_e32 v154, 0x100000, v154
	v_and_b32_e32 v146, 0x10000000, v146
	v_and_b32_e32 v157, 0x100000, v157
	v_and_b32_e32 v143, 0x10000000, v143
	v_lshlrev_b32_e32 v158, 4, v151
	v_lshlrev_b32_e32 v159, 11, v151
	;; [unrolled: 1-line block ×8, first 2 shown]
	v_and_b32_e32 v144, 16, v144
	v_and_b32_e32 v153, 0x1000, v153
	;; [unrolled: 1-line block ×4, first 2 shown]
	v_or3_b32 v145, v146, v145, v154
	v_or3_b32 v140, v143, v140, v157
	v_cvt_f32_f16_e32 v141, v142
	v_cvt_f32_f16_sdwa v142, v142 dst_sel:DWORD dst_unused:UNUSED_PAD src0_sel:WORD_1
	v_and_b32_e32 v112, 0xf0f0f0f, v112
	v_and_b32_e32 v160, 0x100000, v160
	;; [unrolled: 1-line block ×5, first 2 shown]
	v_or3_b32 v146, v145, v144, v153
	v_or3_b32 v145, v140, v155, v156
	v_and_b32_e32 v158, 16, v158
	v_and_b32_e32 v159, 0x1000, v159
	;; [unrolled: 1-line block ×4, first 2 shown]
	v_or3_b32 v143, v151, v149, v160
	v_or3_b32 v112, v113, v112, v163
	v_dot4c_i32_i8_e32 v147, v146, v16
	v_dot4c_i32_i8_e32 v148, v145, v17
	v_or3_b32 v144, v143, v158, v159
	v_or3_b32 v143, v112, v161, v162
	v_cvt_f32_i32_e32 v149, v147
	v_cvt_f32_i32_e32 v148, v148
	v_dot4c_i32_i8_e32 v150, v144, v18
	v_dot4c_i32_i8_e32 v152, v143, v19
	v_mul_f32_e32 v113, v1, v142
	v_mul_f32_e32 v112, v0, v141
	v_cvt_f32_i32_e32 v151, v150
	v_cvt_f32_i32_e32 v150, v152
	v_mul_f32_e32 v153, v3, v115
	v_mul_f32_e32 v152, 0x3e000000, v113
	v_pk_fma_f32 v[112:113], v[112:113], v[148:149], v[152:153] op_sel_hi:[0,1,0]
	v_mul_f32_e32 v140, v2, v114
	v_mul_f32_e32 v154, 0x3e000000, v153
	v_add_f32_e32 v113, 0, v113
	v_pk_fma_f32 v[148:149], v[140:141], v[150:151], v[154:155] op_sel_hi:[0,1,0]
	v_add_f32_e32 v112, v112, v113
	v_add_f32_e32 v112, v112, v149
	v_add_f32_e32 v112, v148, v112
	ds_bpermute_b32 v113, v124, v112
	s_waitcnt lgkmcnt(0)
	v_add_f32_e32 v140, v112, v113
	ds_bpermute_b32 v147, v125, v140
	v_lshl_add_u64 v[112:113], v[30:31], 0, s[38:39]
	s_waitcnt lgkmcnt(0)
	v_add_f32_e32 v140, v140, v147
	s_cbranch_vccz .LBB9_29
; %bb.28:                               ;   in Loop: Header=BB9_27 Depth=1
	global_load_ushort v147, v[112:113], off
	s_waitcnt vmcnt(0)
	v_fma_mix_f32 v140, v122, v147, v140 op_sel_hi:[0,1,0]
.LBB9_29:                               ;   in Loop: Header=BB9_27 Depth=1
	v_mov_b32_e32 v147, 0
	v_dot4c_i32_i8_e32 v147, v146, v20
	v_mov_b32_e32 v146, 0
	v_dot4c_i32_i8_e32 v146, v145, v21
	v_mul_f32_e32 v148, v4, v141
	v_cvt_f32_i32_e32 v147, v147
	v_mul_f32_e32 v141, v5, v142
	v_cvt_f32_i32_e32 v146, v146
	v_mul_f32_e32 v142, 0x3e000000, v141
	v_mul_f32_e32 v115, v7, v115
	;; [unrolled: 1-line block ×3, first 2 shown]
	v_pk_fma_f32 v[146:147], v[148:149], v[146:147], v[142:143] op_sel_hi:[0,1,0]
	v_mov_b32_e32 v142, 0
	v_dot4c_i32_i8_e32 v142, v144, v22
	v_mov_b32_e32 v144, 0
	v_dot4c_i32_i8_e32 v144, v143, v23
	v_add_f32_e32 v141, 0, v147
	v_cvt_f32_i32_e32 v143, v142
	v_add_f32_e32 v141, v146, v141
	v_cvt_f32_i32_e32 v142, v144
	v_mul_f32_e32 v144, 0x3e000000, v115
	s_andn2_b64 vcc, exec, s[44:45]
	v_pk_fma_f32 v[114:115], v[114:115], v[142:143], v[144:145] op_sel_hi:[0,1,0]
	v_add_f32_e32 v115, v141, v115
	v_add_f32_e32 v114, v114, v115
	ds_bpermute_b32 v115, v124, v114
	v_cndmask_b32_e64 v141, 0, 1, s[44:45]
	v_cmp_ne_u32_e64 s[12:13], 1, v141
	s_waitcnt lgkmcnt(0)
	v_add_f32_e32 v114, v114, v115
	ds_bpermute_b32 v115, v125, v114
	s_waitcnt lgkmcnt(0)
	v_add_f32_e32 v141, v114, v115
	s_cbranch_vccnz .LBB9_31
; %bb.30:                               ;   in Loop: Header=BB9_27 Depth=1
	v_lshl_add_u64 v[114:115], v[26:27], 0, s[38:39]
	global_load_ushort v114, v[114:115], off
	s_waitcnt vmcnt(0)
	v_fma_mix_f32 v141, v122, v114, v141 op_sel_hi:[0,1,0]
.LBB9_31:                               ;   in Loop: Header=BB9_27 Depth=1
	v_lshl_add_u64 v[146:147], v[40:41], 0, s[48:49]
	global_load_dwordx2 v[144:145], v[146:147], off
	v_lshl_add_u64 v[148:149], v[38:39], 0, s[48:49]
	global_load_dword v142, v[148:149], off offset:8
	s_andn2_b64 vcc, exec, s[42:43]
	s_waitcnt vmcnt(1)
	v_ashrrev_i32_e32 v115, v14, v145
	v_lshlrev_b32_e32 v143, 4, v115
	v_lshlrev_b32_e32 v150, 11, v115
	;; [unrolled: 1-line block ×4, first 2 shown]
	s_waitcnt vmcnt(0)
	v_and_b32_e32 v114, 0xf0f0f0f, v142
	v_and_b32_e32 v151, 0x100000, v151
	;; [unrolled: 1-line block ×5, first 2 shown]
	v_or3_b32 v114, v115, v114, v151
	v_or3_b32 v143, v114, v143, v150
	v_cvt_f32_f16_e32 v114, v144
	v_cvt_f32_f16_sdwa v115, v144 dst_sel:DWORD dst_unused:UNUSED_PAD src0_sel:WORD_1
	v_ashrrev_i32_e32 v144, v15, v145
	v_lshrrev_b32_e32 v142, 4, v142
	v_lshlrev_b32_e32 v145, 4, v144
	v_lshlrev_b32_e32 v150, 11, v144
	;; [unrolled: 1-line block ×4, first 2 shown]
	v_and_b32_e32 v142, 0xf0f0f0f, v142
	v_and_b32_e32 v151, 0x100000, v151
	;; [unrolled: 1-line block ×5, first 2 shown]
	v_or3_b32 v142, v144, v142, v151
	v_or3_b32 v144, v142, v145, v150
	global_load_dword v142, v[148:149], off offset:32
	s_waitcnt vmcnt(0)
	v_and_b32_e32 v145, 0xf0f0f0f, v142
	global_load_dwordx2 v[148:149], v[146:147], off offset:24
	v_lshrrev_b32_e32 v142, 4, v142
	v_and_b32_e32 v142, 0xf0f0f0f, v142
	s_waitcnt vmcnt(0)
	v_ashrrev_i32_e32 v146, v14, v149
	v_lshlrev_b32_e32 v147, 4, v146
	v_lshlrev_b32_e32 v150, 11, v146
	;; [unrolled: 1-line block ×4, first 2 shown]
	v_and_b32_e32 v151, 0x100000, v151
	v_and_b32_e32 v146, 0x10000000, v146
	;; [unrolled: 1-line block ×4, first 2 shown]
	v_or3_b32 v145, v146, v145, v151
	v_or3_b32 v147, v145, v147, v150
	v_cvt_f32_f16_e32 v145, v148
	v_cvt_f32_f16_sdwa v146, v148 dst_sel:DWORD dst_unused:UNUSED_PAD src0_sel:WORD_1
	v_ashrrev_i32_e32 v148, v15, v149
	v_lshlrev_b32_e32 v149, 4, v148
	v_lshlrev_b32_e32 v150, 11, v148
	;; [unrolled: 1-line block ×4, first 2 shown]
	v_and_b32_e32 v151, 0x100000, v151
	v_and_b32_e32 v148, 0x10000000, v148
	;; [unrolled: 1-line block ×4, first 2 shown]
	v_or3_b32 v142, v148, v142, v151
	v_or3_b32 v148, v142, v149, v150
	v_mov_b32_e32 v149, 0
	v_mov_b32_e32 v151, 0
	v_dot4c_i32_i8_e32 v149, v143, v16
	v_dot4c_i32_i8_e32 v151, v144, v17
	v_mul_f32_e32 v150, v1, v115
	v_mul_f32_e32 v142, v0, v114
	v_cvt_f32_i32_e32 v153, v149
	v_cvt_f32_i32_e32 v152, v151
	v_mul_f32_e32 v150, 0x3e000000, v150
	v_pk_fma_f32 v[150:151], v[142:143], v[152:153], v[150:151] op_sel_hi:[0,1,0]
	v_add_f32_e32 v142, 0, v151
	v_mov_b32_e32 v151, 0
	v_mov_b32_e32 v152, 0
	v_dot4c_i32_i8_e32 v151, v147, v18
	v_dot4c_i32_i8_e32 v152, v148, v19
	v_add_f32_e32 v149, v150, v142
	v_mul_f32_e32 v150, v3, v146
	v_cvt_f32_i32_e32 v153, v151
	v_cvt_f32_i32_e32 v152, v152
	v_mul_f32_e32 v142, v2, v145
	v_mul_f32_e32 v150, 0x3e000000, v150
	v_pk_fma_f32 v[150:151], v[142:143], v[152:153], v[150:151] op_sel_hi:[0,1,0]
	v_add_f32_e32 v142, v149, v151
	v_add_f32_e32 v142, v150, v142
	ds_bpermute_b32 v149, v124, v142
	s_waitcnt lgkmcnt(0)
	v_add_f32_e32 v142, v142, v149
	ds_bpermute_b32 v149, v125, v142
	s_waitcnt lgkmcnt(0)
	v_add_f32_e32 v142, v142, v149
	v_cndmask_b32_e64 v149, 0, 1, s[42:43]
	v_cmp_ne_u32_e64 s[14:15], 1, v149
	s_cbranch_vccnz .LBB9_33
; %bb.32:                               ;   in Loop: Header=BB9_27 Depth=1
	global_load_ushort v149, v[112:113], off offset:2
	s_waitcnt vmcnt(0)
	v_fma_mix_f32 v142, v122, v149, v142 op_sel_hi:[0,1,0]
.LBB9_33:                               ;   in Loop: Header=BB9_27 Depth=1
	v_mov_b32_e32 v149, 0
	v_dot4c_i32_i8_e32 v149, v143, v20
	v_mov_b32_e32 v143, 0
	v_dot4c_i32_i8_e32 v143, v144, v21
	v_mul_f32_e32 v115, v5, v115
	v_cvt_f32_i32_e32 v151, v149
	v_mul_f32_e32 v114, v4, v114
	v_cvt_f32_i32_e32 v150, v143
	v_mul_f32_e32 v144, 0x3e000000, v115
	s_and_b64 vcc, exec, s[12:13]
	v_pk_fma_f32 v[114:115], v[114:115], v[150:151], v[144:145] op_sel_hi:[0,1,0]
	v_add_f32_e32 v115, 0, v115
	v_add_f32_e32 v143, v114, v115
	v_mov_b32_e32 v114, 0
	v_mov_b32_e32 v144, 0
	v_dot4c_i32_i8_e32 v114, v147, v22
	v_dot4c_i32_i8_e32 v144, v148, v23
	s_nop 1
	v_cvt_f32_i32_e32 v115, v114
	v_cvt_f32_i32_e32 v114, v144
	v_mul_f32_e32 v144, v6, v145
	v_mul_f32_e32 v145, v7, v146
	v_mul_f32_e32 v146, 0x3e000000, v145
	v_pk_fma_f32 v[114:115], v[144:145], v[114:115], v[146:147] op_sel_hi:[0,1,0]
	v_add_f32_e32 v115, v143, v115
	v_add_f32_e32 v114, v114, v115
	ds_bpermute_b32 v115, v124, v114
	s_waitcnt lgkmcnt(0)
	v_add_f32_e32 v114, v114, v115
	ds_bpermute_b32 v115, v125, v114
	s_waitcnt lgkmcnt(0)
	v_add_f32_e32 v143, v114, v115
	v_lshl_add_u64 v[114:115], v[34:35], 0, s[38:39]
	s_cbranch_vccnz .LBB9_35
; %bb.34:                               ;   in Loop: Header=BB9_27 Depth=1
	global_load_ushort v144, v[114:115], off offset:2
	s_waitcnt vmcnt(0)
	v_fma_mix_f32 v143, v122, v144, v143 op_sel_hi:[0,1,0]
.LBB9_35:                               ;   in Loop: Header=BB9_27 Depth=1
	v_lshl_add_u64 v[150:151], v[36:37], 0, s[48:49]
	global_load_dwordx2 v[148:149], v[150:151], off
	v_lshl_add_u64 v[152:153], v[32:33], 0, s[48:49]
	global_load_dword v144, v[152:153], off offset:8
	s_and_b64 vcc, exec, s[14:15]
	s_waitcnt vmcnt(1)
	v_ashrrev_i32_e32 v146, v14, v149
	v_lshlrev_b32_e32 v147, 4, v146
	v_lshlrev_b32_e32 v154, 11, v146
	;; [unrolled: 1-line block ×4, first 2 shown]
	s_waitcnt vmcnt(0)
	v_and_b32_e32 v145, 0xf0f0f0f, v144
	v_and_b32_e32 v155, 0x100000, v155
	;; [unrolled: 1-line block ×5, first 2 shown]
	v_or3_b32 v145, v146, v145, v155
	v_or3_b32 v147, v145, v147, v154
	v_cvt_f32_f16_e32 v145, v148
	v_cvt_f32_f16_sdwa v146, v148 dst_sel:DWORD dst_unused:UNUSED_PAD src0_sel:WORD_1
	v_ashrrev_i32_e32 v148, v15, v149
	v_lshrrev_b32_e32 v144, 4, v144
	v_lshlrev_b32_e32 v149, 4, v148
	v_lshlrev_b32_e32 v154, 11, v148
	v_lshlrev_b32_e32 v155, 18, v148
	v_lshlrev_b32_e32 v148, 25, v148
	v_and_b32_e32 v144, 0xf0f0f0f, v144
	v_and_b32_e32 v155, 0x100000, v155
	;; [unrolled: 1-line block ×5, first 2 shown]
	v_or3_b32 v144, v148, v144, v155
	v_or3_b32 v148, v144, v149, v154
	global_load_dword v144, v[152:153], off offset:32
	s_waitcnt vmcnt(0)
	v_and_b32_e32 v149, 0xf0f0f0f, v144
	global_load_dwordx2 v[152:153], v[150:151], off offset:24
	v_lshrrev_b32_e32 v144, 4, v144
	v_and_b32_e32 v144, 0xf0f0f0f, v144
	s_waitcnt vmcnt(0)
	v_ashrrev_i32_e32 v150, v14, v153
	v_lshlrev_b32_e32 v151, 4, v150
	v_lshlrev_b32_e32 v154, 11, v150
	;; [unrolled: 1-line block ×4, first 2 shown]
	v_and_b32_e32 v155, 0x100000, v155
	v_and_b32_e32 v150, 0x10000000, v150
	;; [unrolled: 1-line block ×4, first 2 shown]
	v_or3_b32 v149, v150, v149, v155
	v_or3_b32 v151, v149, v151, v154
	v_cvt_f32_f16_e32 v149, v152
	v_cvt_f32_f16_sdwa v150, v152 dst_sel:DWORD dst_unused:UNUSED_PAD src0_sel:WORD_1
	v_ashrrev_i32_e32 v152, v15, v153
	v_lshlrev_b32_e32 v153, 4, v152
	v_lshlrev_b32_e32 v154, 11, v152
	;; [unrolled: 1-line block ×4, first 2 shown]
	v_and_b32_e32 v155, 0x100000, v155
	v_and_b32_e32 v152, 0x10000000, v152
	;; [unrolled: 1-line block ×4, first 2 shown]
	v_or3_b32 v144, v152, v144, v155
	v_or3_b32 v152, v144, v153, v154
	v_mov_b32_e32 v153, 0
	v_mov_b32_e32 v155, 0
	v_dot4c_i32_i8_e32 v153, v147, v16
	v_dot4c_i32_i8_e32 v155, v148, v17
	v_mul_f32_e32 v154, v1, v146
	v_mul_f32_e32 v144, v0, v145
	v_cvt_f32_i32_e32 v157, v153
	v_cvt_f32_i32_e32 v156, v155
	v_mul_f32_e32 v154, 0x3e000000, v154
	v_pk_fma_f32 v[154:155], v[144:145], v[156:157], v[154:155] op_sel_hi:[0,1,0]
	v_add_f32_e32 v144, 0, v155
	v_mov_b32_e32 v155, 0
	v_mov_b32_e32 v156, 0
	v_dot4c_i32_i8_e32 v155, v151, v18
	v_dot4c_i32_i8_e32 v156, v152, v19
	v_add_f32_e32 v153, v154, v144
	v_mul_f32_e32 v154, v3, v150
	v_cvt_f32_i32_e32 v157, v155
	v_cvt_f32_i32_e32 v156, v156
	v_mul_f32_e32 v144, v2, v149
	v_mul_f32_e32 v154, 0x3e000000, v154
	v_pk_fma_f32 v[154:155], v[144:145], v[156:157], v[154:155] op_sel_hi:[0,1,0]
	v_add_f32_e32 v144, v153, v155
	v_add_f32_e32 v144, v154, v144
	ds_bpermute_b32 v153, v124, v144
	s_waitcnt lgkmcnt(0)
	v_add_f32_e32 v144, v144, v153
	ds_bpermute_b32 v153, v125, v144
	s_waitcnt lgkmcnt(0)
	v_add_f32_e32 v144, v144, v153
	s_cbranch_vccnz .LBB9_37
; %bb.36:                               ;   in Loop: Header=BB9_27 Depth=1
	global_load_ushort v153, v[112:113], off offset:4
	s_waitcnt vmcnt(0)
	v_fma_mix_f32 v144, v122, v153, v144 op_sel_hi:[0,1,0]
.LBB9_37:                               ;   in Loop: Header=BB9_27 Depth=1
	v_mov_b32_e32 v153, 0
	v_dot4c_i32_i8_e32 v153, v147, v20
	v_mov_b32_e32 v147, 0
	v_dot4c_i32_i8_e32 v147, v148, v21
	v_mul_f32_e32 v148, v4, v145
	v_cvt_f32_i32_e32 v155, v153
	v_mul_f32_e32 v145, v5, v146
	v_cvt_f32_i32_e32 v154, v147
	v_mul_f32_e32 v146, 0x3e000000, v145
	s_and_b64 vcc, exec, s[12:13]
	v_pk_fma_f32 v[146:147], v[148:149], v[154:155], v[146:147] op_sel_hi:[0,1,0]
	v_add_f32_e32 v145, 0, v147
	v_add_f32_e32 v145, v146, v145
	v_mov_b32_e32 v146, 0
	v_mov_b32_e32 v148, 0
	v_dot4c_i32_i8_e32 v146, v151, v22
	v_dot4c_i32_i8_e32 v148, v152, v23
	s_nop 1
	v_cvt_f32_i32_e32 v147, v146
	v_cvt_f32_i32_e32 v146, v148
	v_mul_f32_e32 v148, v6, v149
	v_mul_f32_e32 v149, v7, v150
	;; [unrolled: 1-line block ×3, first 2 shown]
	v_pk_fma_f32 v[146:147], v[148:149], v[146:147], v[150:151] op_sel_hi:[0,1,0]
	v_add_f32_e32 v145, v145, v147
	v_add_f32_e32 v145, v146, v145
	ds_bpermute_b32 v146, v124, v145
	s_waitcnt lgkmcnt(0)
	v_add_f32_e32 v145, v145, v146
	ds_bpermute_b32 v146, v125, v145
	s_waitcnt lgkmcnt(0)
	v_add_f32_e32 v145, v145, v146
	s_cbranch_vccnz .LBB9_39
; %bb.38:                               ;   in Loop: Header=BB9_27 Depth=1
	global_load_ushort v146, v[114:115], off offset:4
	s_waitcnt vmcnt(0)
	v_fma_mix_f32 v145, v122, v146, v145 op_sel_hi:[0,1,0]
.LBB9_39:                               ;   in Loop: Header=BB9_27 Depth=1
	v_lshl_add_u64 v[150:151], v[28:29], 0, s[48:49]
	global_load_dwordx2 v[154:155], v[150:151], off
	v_lshl_add_u64 v[152:153], v[24:25], 0, s[48:49]
	global_load_dword v149, v[152:153], off offset:8
	s_and_b64 vcc, exec, s[14:15]
	global_load_dword v153, v[152:153], off offset:32
	s_waitcnt vmcnt(2)
	v_ashrrev_i32_e32 v147, v14, v155
	v_lshlrev_b32_e32 v148, 4, v147
	v_lshlrev_b32_e32 v156, 11, v147
	;; [unrolled: 1-line block ×4, first 2 shown]
	s_waitcnt vmcnt(1)
	v_and_b32_e32 v146, 0xf0f0f0f, v149
	v_and_b32_e32 v157, 0x100000, v157
	;; [unrolled: 1-line block ×5, first 2 shown]
	v_or3_b32 v146, v147, v146, v157
	v_or3_b32 v148, v146, v148, v156
	v_cvt_f32_f16_e32 v146, v154
	v_cvt_f32_f16_sdwa v147, v154 dst_sel:DWORD dst_unused:UNUSED_PAD src0_sel:WORD_1
	v_ashrrev_i32_e32 v154, v15, v155
	v_lshrrev_b32_e32 v149, 4, v149
	v_lshlrev_b32_e32 v155, 4, v154
	v_lshlrev_b32_e32 v156, 11, v154
	;; [unrolled: 1-line block ×4, first 2 shown]
	v_and_b32_e32 v149, 0xf0f0f0f, v149
	v_and_b32_e32 v157, 0x100000, v157
	;; [unrolled: 1-line block ×5, first 2 shown]
	v_or3_b32 v149, v154, v149, v157
	v_or3_b32 v149, v149, v155, v156
	global_load_dwordx2 v[154:155], v[150:151], off offset:24
	s_waitcnt vmcnt(1)
	v_and_b32_e32 v152, 0xf0f0f0f, v153
	v_lshrrev_b32_e32 v153, 4, v153
	v_and_b32_e32 v153, 0xf0f0f0f, v153
	s_waitcnt vmcnt(0)
	v_ashrrev_i32_e32 v150, v14, v155
	v_lshlrev_b32_e32 v151, 4, v150
	v_lshlrev_b32_e32 v156, 11, v150
	;; [unrolled: 1-line block ×4, first 2 shown]
	v_and_b32_e32 v157, 0x100000, v157
	v_and_b32_e32 v150, 0x10000000, v150
	;; [unrolled: 1-line block ×4, first 2 shown]
	v_or3_b32 v150, v150, v152, v157
	v_or3_b32 v152, v150, v151, v156
	v_cvt_f32_f16_e32 v150, v154
	v_cvt_f32_f16_sdwa v151, v154 dst_sel:DWORD dst_unused:UNUSED_PAD src0_sel:WORD_1
	v_ashrrev_i32_e32 v154, v15, v155
	v_lshlrev_b32_e32 v155, 4, v154
	v_lshlrev_b32_e32 v156, 11, v154
	;; [unrolled: 1-line block ×4, first 2 shown]
	v_and_b32_e32 v157, 0x100000, v157
	v_and_b32_e32 v154, 0x10000000, v154
	;; [unrolled: 1-line block ×4, first 2 shown]
	v_or3_b32 v153, v154, v153, v157
	v_or3_b32 v153, v153, v155, v156
	v_mov_b32_e32 v155, 0
	v_mov_b32_e32 v157, 0
	v_dot4c_i32_i8_e32 v155, v148, v16
	v_dot4c_i32_i8_e32 v157, v149, v17
	v_mul_f32_e32 v156, v1, v147
	v_mul_f32_e32 v154, v0, v146
	v_cvt_f32_i32_e32 v159, v155
	v_cvt_f32_i32_e32 v158, v157
	v_mul_f32_e32 v156, 0x3e000000, v156
	v_pk_fma_f32 v[154:155], v[154:155], v[158:159], v[156:157] op_sel_hi:[0,1,0]
	v_add_f32_e32 v155, 0, v155
	v_add_f32_e32 v157, v154, v155
	v_mov_b32_e32 v155, 0
	v_mov_b32_e32 v158, 0
	v_dot4c_i32_i8_e32 v155, v152, v18
	v_dot4c_i32_i8_e32 v158, v153, v19
	v_mul_f32_e32 v156, v3, v151
	v_mul_f32_e32 v154, v2, v150
	v_cvt_f32_i32_e32 v159, v155
	v_cvt_f32_i32_e32 v158, v158
	v_mul_f32_e32 v156, 0x3e000000, v156
	v_pk_fma_f32 v[154:155], v[154:155], v[158:159], v[156:157] op_sel_hi:[0,1,0]
	v_add_f32_e32 v155, v157, v155
	v_add_f32_e32 v154, v154, v155
	ds_bpermute_b32 v155, v124, v154
	s_waitcnt lgkmcnt(0)
	v_add_f32_e32 v154, v154, v155
	ds_bpermute_b32 v155, v125, v154
	s_waitcnt lgkmcnt(0)
	v_add_f32_e32 v154, v154, v155
	s_cbranch_vccnz .LBB9_41
; %bb.40:                               ;   in Loop: Header=BB9_27 Depth=1
	global_load_ushort v112, v[112:113], off offset:6
	s_waitcnt vmcnt(0)
	v_fma_mix_f32 v154, v122, v112, v154 op_sel_hi:[0,1,0]
.LBB9_41:                               ;   in Loop: Header=BB9_27 Depth=1
	v_mov_b32_e32 v112, 0
	v_dot4c_i32_i8_e32 v112, v148, v20
	v_mov_b32_e32 v148, 0
	v_dot4c_i32_i8_e32 v148, v149, v21
	v_mul_f32_e32 v147, v5, v147
	v_cvt_f32_i32_e32 v113, v112
	v_mul_f32_e32 v146, v4, v146
	v_cvt_f32_i32_e32 v112, v148
	v_mul_f32_e32 v148, 0x3e000000, v147
	s_and_b64 vcc, exec, s[12:13]
	v_pk_fma_f32 v[112:113], v[146:147], v[112:113], v[148:149] op_sel_hi:[0,1,0]
	v_add_f32_e32 v113, 0, v113
	v_add_f32_e32 v147, v112, v113
	v_mov_b32_e32 v112, 0
	v_mov_b32_e32 v146, 0
	v_dot4c_i32_i8_e32 v112, v152, v22
	v_dot4c_i32_i8_e32 v146, v153, v23
	v_mul_f32_e32 v148, v7, v151
	v_mul_f32_e32 v148, 0x3e000000, v148
	v_cvt_f32_i32_e32 v113, v112
	v_cvt_f32_i32_e32 v112, v146
	v_mul_f32_e32 v146, v6, v150
	v_pk_fma_f32 v[112:113], v[146:147], v[112:113], v[148:149] op_sel_hi:[0,1,0]
	v_add_f32_e32 v113, v147, v113
	v_add_f32_e32 v112, v112, v113
	ds_bpermute_b32 v113, v124, v112
	s_waitcnt lgkmcnt(0)
	v_add_f32_e32 v112, v112, v113
	ds_bpermute_b32 v113, v125, v112
	s_waitcnt lgkmcnt(0)
	v_add_f32_e32 v112, v112, v113
	s_cbranch_vccnz .LBB9_43
; %bb.42:                               ;   in Loop: Header=BB9_27 Depth=1
	global_load_ushort v113, v[114:115], off offset:6
	s_waitcnt vmcnt(0)
	v_fma_mix_f32 v112, v122, v113, v112 op_sel_hi:[0,1,0]
.LBB9_43:                               ;   in Loop: Header=BB9_27 Depth=1
	v_cndmask_b32_e64 v111, v111, v141, s[16:17]
	v_add_f32_e32 v113, 0x40051340, v140
	v_add_f32_e32 v114, 0x40051340, v142
	v_cndmask_b32_e64 v111, v111, v143, s[6:7]
	v_max3_f32 v113, v139, v113, v114
	v_add_f32_e32 v114, 0x40051340, v144
	v_add_f32_e32 v115, 0x40051340, v154
	v_cndmask_b32_e64 v111, v111, v145, s[8:9]
	v_max3_f32 v113, v113, v114, v115
	v_cndmask_b32_e64 v110, v110, v140, s[16:17]
	v_add_f32_e32 v140, 0x40051340, v112
	v_cndmask_b32_e64 v111, v111, v112, s[10:11]
	ds_bpermute_b32 v112, v126, v113
	v_add_f32_e32 v114, 0x40051340, v141
	v_add_f32_e32 v115, 0x40051340, v143
	v_max3_f32 v114, v138, v114, v115
	v_add_f32_e32 v115, 0x40051340, v145
	s_waitcnt lgkmcnt(0)
	v_max_f32_e32 v112, v112, v112
	v_max_f32_e32 v112, v113, v112
	ds_bpermute_b32 v113, v127, v112
	v_max3_f32 v115, v114, v115, v140
	v_cndmask_b32_e64 v110, v110, v142, s[6:7]
	v_cndmask_b32_e64 v110, v110, v144, s[8:9]
	;; [unrolled: 1-line block ×3, first 2 shown]
	s_waitcnt lgkmcnt(0)
	v_max_f32_e32 v113, v113, v113
	v_max_f32_e32 v112, v112, v113
	ds_bpermute_b32 v113, v128, v112
	s_add_i32 s26, s26, s40
	v_lshl_add_u64 v[24:25], v[24:25], 0, s[50:51]
	v_lshl_add_u64 v[26:27], v[26:27], 0, s[46:47]
	;; [unrolled: 1-line block ×3, first 2 shown]
	s_waitcnt lgkmcnt(0)
	v_max_f32_e32 v113, v113, v113
	v_max_f32_e32 v112, v112, v113
	v_sub_f32_e32 v113, v139, v112
	v_mul_f32_e32 v114, 0x3fb8aa3b, v113
	v_fma_f32 v139, v113, s18, -v114
	v_rndne_f32_e32 v140, v114
	v_fmac_f32_e32 v139, 0x32a5705f, v113
	v_sub_f32_e32 v114, v114, v140
	v_add_f32_e32 v114, v114, v139
	v_exp_f32_e32 v114, v114
	v_cvt_i32_f32_e32 v139, v140
	v_cmp_ngt_f32_e32 vcc, s19, v113
	v_sub_f32_e32 v110, v110, v112
	v_lshl_add_u64 v[30:31], v[30:31], 0, s[46:47]
	v_ldexp_f32 v114, v114, v139
	v_cndmask_b32_e32 v114, 0, v114, vcc
	v_cmp_nlt_f32_e32 vcc, s20, v113
	v_mul_f32_e32 v113, 0x3fb8aa3b, v110
	v_fma_f32 v139, v110, s18, -v113
	v_rndne_f32_e32 v140, v113
	v_fmac_f32_e32 v139, 0x32a5705f, v110
	v_sub_f32_e32 v113, v113, v140
	v_add_f32_e32 v113, v113, v139
	v_exp_f32_e32 v113, v113
	v_cvt_i32_f32_e32 v139, v140
	v_cndmask_b32_e32 v114, v136, v114, vcc
	v_cmp_ngt_f32_e32 vcc, s19, v110
	v_lshl_add_u64 v[32:33], v[32:33], 0, s[50:51]
	v_ldexp_f32 v113, v113, v139
	v_cndmask_b32_e32 v113, 0, v113, vcc
	v_cmp_nlt_f32_e32 vcc, s20, v110
	v_lshl_add_u64 v[34:35], v[34:35], 0, s[46:47]
	v_lshl_add_u64 v[36:37], v[36:37], 0, s[50:51]
	v_cndmask_b32_e32 v110, v136, v113, vcc
	v_cvt_f16_f32_e32 v113, v110
	v_lshl_add_u64 v[38:39], v[38:39], 0, s[50:51]
	v_lshl_add_u64 v[40:41], v[40:41], 0, s[50:51]
	;; [unrolled: 1-line block ×3, first 2 shown]
	ds_write_b16 v119, v113
	v_cvt_f16_f32_e32 v113, v114
	v_lshl_add_u64 v[48:49], v[48:49], 0, s[50:51]
	s_cmp_ge_i32 s26, s37
	v_mul_u32_u24_e32 v113, 0x10001, v113
	v_pk_mul_f16 v140, v8, v113
	ds_bpermute_b32 v8, v126, v115
	v_pk_mul_f16 v141, v9, v113
	s_waitcnt lgkmcnt(0)
	v_max_f32_e32 v8, v8, v8
	v_max_f32_e32 v8, v115, v8
	ds_bpermute_b32 v9, v127, v8
	s_waitcnt lgkmcnt(0)
	v_max_f32_e32 v9, v9, v9
	v_max_f32_e32 v8, v8, v9
	ds_bpermute_b32 v9, v128, v8
	s_waitcnt lgkmcnt(0)
	v_max_f32_e32 v9, v9, v9
	v_max_f32_e32 v113, v8, v9
	v_sub_f32_e32 v8, v138, v113
	v_mul_f32_e32 v9, 0x3fb8aa3b, v8
	v_fma_f32 v115, v8, s18, -v9
	v_rndne_f32_e32 v138, v9
	v_fmac_f32_e32 v115, 0x32a5705f, v8
	v_sub_f32_e32 v9, v9, v138
	v_add_f32_e32 v9, v9, v115
	v_exp_f32_e32 v9, v9
	v_cvt_i32_f32_e32 v115, v138
	v_cmp_ngt_f32_e32 vcc, s19, v8
	v_ldexp_f32 v9, v9, v115
	s_nop 0
	v_cndmask_b32_e32 v9, 0, v9, vcc
	v_cmp_nlt_f32_e32 vcc, s20, v8
	v_sub_f32_e32 v8, v111, v113
	s_nop 0
	v_cndmask_b32_e32 v115, v136, v9, vcc
	v_mul_f32_e32 v9, 0x3fb8aa3b, v8
	v_fma_f32 v111, v8, s18, -v9
	v_rndne_f32_e32 v138, v9
	v_fmac_f32_e32 v111, 0x32a5705f, v8
	v_sub_f32_e32 v9, v9, v138
	v_add_f32_e32 v9, v9, v111
	v_exp_f32_e32 v9, v9
	v_cvt_i32_f32_e32 v111, v138
	v_cmp_ngt_f32_e32 vcc, s19, v8
	v_ldexp_f32 v9, v9, v111
	s_nop 0
	v_cndmask_b32_e32 v9, 0, v9, vcc
	v_cmp_nlt_f32_e32 vcc, s20, v8
	s_nop 1
	v_cndmask_b32_e32 v111, v136, v9, vcc
	v_cvt_f16_f32_e32 v8, v111
	v_pk_fma_f32 v[12:13], v[12:13], v[114:115], v[110:111]
	ds_write_b16 v119, v8 offset:256
	v_cvt_f16_f32_e32 v8, v115
	v_lshl_add_u64 v[114:115], v[46:47], 0, s[22:23]
	v_lshl_add_u64 v[46:47], v[46:47], 0, s[52:53]
	v_mul_u32_u24_e32 v8, 0x10001, v8
	v_pk_mul_f16 v10, v10, v8
	v_pk_mul_f16 v138, v11, v8
	ds_read_u16 v8, v129
	ds_read_u16 v144, v129 offset:16
	ds_read_u16 v139, v129 offset:32
	;; [unrolled: 1-line block ×3, first 2 shown]
	global_load_dword v114, v[114:115], off
	s_waitcnt lgkmcnt(3)
	v_mul_u32_u24_e32 v142, 0x10001, v8
	ds_read_u16 v8, v129 offset:256
	s_waitcnt lgkmcnt(3)
	v_mul_u32_u24_e32 v144, 0x10001, v144
	s_waitcnt lgkmcnt(2)
	v_mul_u32_u24_e32 v139, 0x10001, v139
	;; [unrolled: 2-line block ×4, first 2 shown]
	v_lshl_add_u64 v[8:9], v[42:43], 0, s[22:23]
	global_load_dwordx2 v[8:9], v[8:9], off offset:-4
	v_lshl_add_u64 v[42:43], v[42:43], 0, s[52:53]
	s_waitcnt vmcnt(1)
	v_ashrrev_i32_e32 v114, v132, v114
	v_and_b32_e32 v114, 0xf0f0f0f, v114
	s_waitcnt vmcnt(0)
	v_lshrrev_b32_e32 v115, v131, v9
	v_lshlrev_b32_e32 v115, 4, v115
	v_and_or_b32 v114, v115, 16, v114
	v_lshrrev_b32_e32 v115, v133, v9
	v_lshrrev_b32_e32 v145, v134, v9
	v_lshrrev_b32_e32 v9, v135, v9
	v_lshlrev_b32_e32 v115, 12, v115
	v_lshlrev_b32_e32 v145, 20, v145
	;; [unrolled: 1-line block ×3, first 2 shown]
	v_and_or_b32 v115, v115, s4, v114
	v_and_b32_e32 v145, 0x100000, v145
	v_and_b32_e32 v9, 0x10000000, v9
	v_or3_b32 v9, v145, v9, v115
	v_lshrrev_b32_e32 v115, 8, v115
	v_and_b32_e32 v114, 31, v114
	v_and_b32_e32 v115, 31, v115
	v_cvt_f16_u16_e32 v114, v114
	v_cvt_f16_u16_e32 v115, v115
	v_pack_b32_f16 v114, v114, v115
	v_and_b32_sdwa v115, v9, v137 dst_sel:DWORD dst_unused:UNUSED_PAD src0_sel:WORD_1 src1_sel:DWORD
	v_cvt_f16_u16_sdwa v9, v9 dst_sel:DWORD dst_unused:UNUSED_PAD src0_sel:BYTE_3
	v_cvt_f16_u16_e32 v115, v115
	v_mul_u32_u24_sdwa v145, v8, s21 dst_sel:DWORD dst_unused:UNUSED_PAD src0_sel:WORD_0 src1_sel:DWORD
	v_mul_u32_u24_sdwa v8, v8, s21 dst_sel:DWORD dst_unused:UNUSED_PAD src0_sel:WORD_1 src1_sel:DWORD
	v_pack_b32_f16 v9, v115, v9
	v_pk_fma_f16 v114, v114, v145, v8
	v_pk_fma_f16 v8, v9, v145, v8
	;; [unrolled: 1-line block ×6, first 2 shown]
	ds_read_u16 v140, v130 offset:4
	ds_read_u16 v149, v130 offset:8
	;; [unrolled: 1-line block ×12, first 2 shown]
	s_waitcnt lgkmcnt(11)
	v_mul_u32_u24_e32 v154, 0x10001, v140
	ds_read_u16 v140, v130 offset:260
	v_lshl_add_u64 v[142:143], v[54:55], 0, s[22:23]
	global_load_dword v142, v[142:143], off
	s_waitcnt lgkmcnt(11)
	v_mul_u32_u24_e32 v149, 0x10001, v149
	s_waitcnt lgkmcnt(5)
	v_mul_u32_u24_e32 v115, 0x10001, v115
	;; [unrolled: 2-line block ×3, first 2 shown]
	v_lshl_add_u64 v[140:141], v[50:51], 0, s[22:23]
	global_load_dwordx2 v[140:141], v[140:141], off
	v_mul_u32_u24_e32 v9, 0x10001, v9
	v_lshl_add_u64 v[50:51], v[50:51], 0, s[52:53]
	v_lshl_add_u64 v[54:55], v[54:55], 0, s[52:53]
	s_waitcnt vmcnt(1)
	v_ashrrev_i32_e32 v142, v132, v142
	v_and_b32_e32 v142, 0xf0f0f0f, v142
	s_waitcnt vmcnt(0)
	v_lshrrev_b32_e32 v143, v131, v141
	v_lshlrev_b32_e32 v143, 4, v143
	v_and_or_b32 v142, v143, 16, v142
	v_lshrrev_b32_e32 v143, v133, v141
	v_lshrrev_b32_e32 v156, v134, v141
	;; [unrolled: 1-line block ×3, first 2 shown]
	v_lshlrev_b32_e32 v143, 12, v143
	v_lshlrev_b32_e32 v156, 20, v156
	;; [unrolled: 1-line block ×3, first 2 shown]
	v_and_or_b32 v143, v143, s4, v142
	v_and_b32_e32 v156, 0x100000, v156
	v_and_b32_e32 v141, 0x10000000, v141
	v_or3_b32 v141, v156, v141, v143
	v_lshrrev_b32_e32 v143, 8, v143
	v_and_b32_e32 v142, 31, v142
	v_and_b32_e32 v143, 31, v143
	v_cvt_f16_u16_e32 v142, v142
	v_cvt_f16_u16_e32 v143, v143
	v_pack_b32_f16 v142, v142, v143
	v_and_b32_sdwa v143, v141, v137 dst_sel:DWORD dst_unused:UNUSED_PAD src0_sel:WORD_1 src1_sel:DWORD
	v_cvt_f16_u16_sdwa v141, v141 dst_sel:DWORD dst_unused:UNUSED_PAD src0_sel:BYTE_3
	v_cvt_f16_u16_e32 v143, v143
	v_mul_u32_u24_sdwa v156, v140, s21 dst_sel:DWORD dst_unused:UNUSED_PAD src0_sel:WORD_0 src1_sel:DWORD
	v_mul_u32_u24_sdwa v140, v140, s21 dst_sel:DWORD dst_unused:UNUSED_PAD src0_sel:WORD_1 src1_sel:DWORD
	v_pack_b32_f16 v141, v143, v141
	v_pk_fma_f16 v142, v142, v156, v140
	v_pk_fma_f16 v140, v141, v156, v140
	;; [unrolled: 1-line block ×5, first 2 shown]
	ds_read_u16 v140, v130 offset:264
	v_pk_fma_f16 v146, v142, v155, v146
	v_lshl_add_u64 v[142:143], v[66:67], 0, s[22:23]
	global_load_dword v142, v[142:143], off
	v_lshl_add_u64 v[66:67], v[66:67], 0, s[52:53]
	s_waitcnt lgkmcnt(0)
	v_mul_u32_u24_e32 v154, 0x10001, v140
	v_lshl_add_u64 v[140:141], v[60:61], 0, s[22:23]
	global_load_dwordx2 v[140:141], v[140:141], off
	v_lshl_add_u64 v[60:61], v[60:61], 0, s[52:53]
	s_waitcnt vmcnt(1)
	v_ashrrev_i32_e32 v142, v132, v142
	v_and_b32_e32 v142, 0xf0f0f0f, v142
	s_waitcnt vmcnt(0)
	v_lshrrev_b32_e32 v143, v131, v141
	v_lshlrev_b32_e32 v143, 4, v143
	v_and_or_b32 v142, v143, 16, v142
	v_lshrrev_b32_e32 v143, v133, v141
	v_lshrrev_b32_e32 v155, v134, v141
	;; [unrolled: 1-line block ×3, first 2 shown]
	v_lshlrev_b32_e32 v143, 12, v143
	v_lshlrev_b32_e32 v155, 20, v155
	;; [unrolled: 1-line block ×3, first 2 shown]
	v_and_or_b32 v143, v143, s4, v142
	v_and_b32_e32 v155, 0x100000, v155
	v_and_b32_e32 v141, 0x10000000, v141
	v_or3_b32 v141, v155, v141, v143
	v_lshrrev_b32_e32 v143, 8, v143
	v_and_b32_e32 v142, 31, v142
	v_and_b32_e32 v143, 31, v143
	v_cvt_f16_u16_e32 v142, v142
	v_cvt_f16_u16_e32 v143, v143
	v_pack_b32_f16 v142, v142, v143
	v_and_b32_sdwa v143, v141, v137 dst_sel:DWORD dst_unused:UNUSED_PAD src0_sel:WORD_1 src1_sel:DWORD
	v_cvt_f16_u16_sdwa v141, v141 dst_sel:DWORD dst_unused:UNUSED_PAD src0_sel:BYTE_3
	v_cvt_f16_u16_e32 v143, v143
	v_mul_u32_u24_sdwa v155, v140, s21 dst_sel:DWORD dst_unused:UNUSED_PAD src0_sel:WORD_0 src1_sel:DWORD
	v_mul_u32_u24_sdwa v140, v140, s21 dst_sel:DWORD dst_unused:UNUSED_PAD src0_sel:WORD_1 src1_sel:DWORD
	v_pack_b32_f16 v141, v143, v141
	v_pk_fma_f16 v142, v142, v155, v140
	v_pk_fma_f16 v140, v141, v155, v140
	;; [unrolled: 1-line block ×5, first 2 shown]
	ds_read_u16 v140, v130 offset:268
	v_pk_fma_f16 v146, v142, v154, v146
	v_mul_u32_u24_e32 v149, 0x10001, v150
	v_lshl_add_u64 v[142:143], v[78:79], 0, s[22:23]
	global_load_dword v142, v[142:143], off
	s_waitcnt lgkmcnt(0)
	v_mul_u32_u24_e32 v150, 0x10001, v140
	v_lshl_add_u64 v[140:141], v[72:73], 0, s[22:23]
	global_load_dwordx2 v[140:141], v[140:141], off
	v_lshl_add_u64 v[72:73], v[72:73], 0, s[52:53]
	v_lshl_add_u64 v[78:79], v[78:79], 0, s[52:53]
	s_waitcnt vmcnt(1)
	v_ashrrev_i32_e32 v142, v132, v142
	v_and_b32_e32 v142, 0xf0f0f0f, v142
	s_waitcnt vmcnt(0)
	v_lshrrev_b32_e32 v143, v131, v141
	v_lshlrev_b32_e32 v143, 4, v143
	v_and_or_b32 v142, v143, 16, v142
	v_lshrrev_b32_e32 v143, v133, v141
	v_lshrrev_b32_e32 v154, v134, v141
	;; [unrolled: 1-line block ×3, first 2 shown]
	v_lshlrev_b32_e32 v143, 12, v143
	v_lshlrev_b32_e32 v154, 20, v154
	;; [unrolled: 1-line block ×3, first 2 shown]
	v_and_or_b32 v143, v143, s4, v142
	v_and_b32_e32 v154, 0x100000, v154
	v_and_b32_e32 v141, 0x10000000, v141
	v_or3_b32 v141, v154, v141, v143
	v_lshrrev_b32_e32 v143, 8, v143
	v_and_b32_e32 v142, 31, v142
	v_and_b32_e32 v143, 31, v143
	v_cvt_f16_u16_e32 v142, v142
	v_cvt_f16_u16_e32 v143, v143
	v_pack_b32_f16 v142, v142, v143
	v_and_b32_sdwa v143, v141, v137 dst_sel:DWORD dst_unused:UNUSED_PAD src0_sel:WORD_1 src1_sel:DWORD
	v_cvt_f16_u16_sdwa v141, v141 dst_sel:DWORD dst_unused:UNUSED_PAD src0_sel:BYTE_3
	v_cvt_f16_u16_e32 v143, v143
	v_mul_u32_u24_sdwa v154, v140, s21 dst_sel:DWORD dst_unused:UNUSED_PAD src0_sel:WORD_0 src1_sel:DWORD
	v_mul_u32_u24_sdwa v140, v140, s21 dst_sel:DWORD dst_unused:UNUSED_PAD src0_sel:WORD_1 src1_sel:DWORD
	v_pack_b32_f16 v141, v143, v141
	v_pk_fma_f16 v142, v142, v154, v140
	v_pk_fma_f16 v140, v141, v154, v140
	;; [unrolled: 1-line block ×5, first 2 shown]
	ds_read_u16 v140, v129 offset:272
	v_pk_fma_f16 v146, v142, v150, v146
	v_lshl_add_u64 v[142:143], v[90:91], 0, s[22:23]
	global_load_dword v142, v[142:143], off
	v_lshl_add_u64 v[90:91], v[90:91], 0, s[52:53]
	s_waitcnt lgkmcnt(0)
	v_mul_u32_u24_e32 v149, 0x10001, v140
	v_lshl_add_u64 v[140:141], v[84:85], 0, s[22:23]
	global_load_dwordx2 v[140:141], v[140:141], off
	v_lshl_add_u64 v[84:85], v[84:85], 0, s[52:53]
	s_waitcnt vmcnt(1)
	v_ashrrev_i32_e32 v142, v132, v142
	v_and_b32_e32 v142, 0xf0f0f0f, v142
	s_waitcnt vmcnt(0)
	v_lshrrev_b32_e32 v143, v131, v141
	v_lshlrev_b32_e32 v143, 4, v143
	v_and_or_b32 v142, v143, 16, v142
	v_lshrrev_b32_e32 v143, v133, v141
	v_lshrrev_b32_e32 v150, v134, v141
	;; [unrolled: 1-line block ×3, first 2 shown]
	v_lshlrev_b32_e32 v143, 12, v143
	v_lshlrev_b32_e32 v150, 20, v150
	;; [unrolled: 1-line block ×3, first 2 shown]
	v_and_or_b32 v143, v143, s4, v142
	v_and_b32_e32 v150, 0x100000, v150
	v_and_b32_e32 v141, 0x10000000, v141
	v_or3_b32 v141, v150, v141, v143
	v_lshrrev_b32_e32 v143, 8, v143
	v_and_b32_e32 v142, 31, v142
	v_and_b32_e32 v143, 31, v143
	v_cvt_f16_u16_e32 v142, v142
	v_cvt_f16_u16_e32 v143, v143
	v_pack_b32_f16 v142, v142, v143
	v_and_b32_sdwa v143, v141, v137 dst_sel:DWORD dst_unused:UNUSED_PAD src0_sel:WORD_1 src1_sel:DWORD
	v_cvt_f16_u16_sdwa v141, v141 dst_sel:DWORD dst_unused:UNUSED_PAD src0_sel:BYTE_3
	v_cvt_f16_u16_e32 v143, v143
	v_mul_u32_u24_sdwa v150, v140, s21 dst_sel:DWORD dst_unused:UNUSED_PAD src0_sel:WORD_0 src1_sel:DWORD
	v_mul_u32_u24_sdwa v140, v140, s21 dst_sel:DWORD dst_unused:UNUSED_PAD src0_sel:WORD_1 src1_sel:DWORD
	v_pack_b32_f16 v141, v143, v141
	v_pk_fma_f16 v142, v142, v150, v140
	v_pk_fma_f16 v140, v141, v150, v140
	;; [unrolled: 1-line block ×5, first 2 shown]
	ds_read_u16 v140, v130 offset:276
	v_pk_fma_f16 v146, v142, v149, v146
	v_lshl_add_u64 v[142:143], v[102:103], 0, s[22:23]
	global_load_dword v142, v[142:143], off
	v_mul_u32_u24_e32 v148, 0x10001, v151
	s_waitcnt lgkmcnt(0)
	v_mul_u32_u24_e32 v149, 0x10001, v140
	v_lshl_add_u64 v[140:141], v[96:97], 0, s[22:23]
	global_load_dwordx2 v[140:141], v[140:141], off
	v_lshl_add_u64 v[96:97], v[96:97], 0, s[52:53]
	v_lshl_add_u64 v[102:103], v[102:103], 0, s[52:53]
	s_waitcnt vmcnt(1)
	v_ashrrev_i32_e32 v142, v132, v142
	v_and_b32_e32 v142, 0xf0f0f0f, v142
	s_waitcnt vmcnt(0)
	v_lshrrev_b32_e32 v143, v131, v141
	v_lshlrev_b32_e32 v143, 4, v143
	v_and_or_b32 v142, v143, 16, v142
	v_lshrrev_b32_e32 v143, v133, v141
	v_lshrrev_b32_e32 v150, v134, v141
	v_lshrrev_b32_e32 v141, v135, v141
	v_lshlrev_b32_e32 v143, 12, v143
	v_lshlrev_b32_e32 v150, 20, v150
	;; [unrolled: 1-line block ×3, first 2 shown]
	v_and_or_b32 v143, v143, s4, v142
	v_and_b32_e32 v150, 0x100000, v150
	v_and_b32_e32 v141, 0x10000000, v141
	v_or3_b32 v141, v150, v141, v143
	v_lshrrev_b32_e32 v143, 8, v143
	v_and_b32_e32 v142, 31, v142
	v_and_b32_e32 v143, 31, v143
	v_cvt_f16_u16_e32 v142, v142
	v_cvt_f16_u16_e32 v143, v143
	v_pack_b32_f16 v142, v142, v143
	v_and_b32_sdwa v143, v141, v137 dst_sel:DWORD dst_unused:UNUSED_PAD src0_sel:WORD_1 src1_sel:DWORD
	v_cvt_f16_u16_sdwa v141, v141 dst_sel:DWORD dst_unused:UNUSED_PAD src0_sel:BYTE_3
	v_cvt_f16_u16_e32 v143, v143
	v_mul_u32_u24_sdwa v150, v140, s21 dst_sel:DWORD dst_unused:UNUSED_PAD src0_sel:WORD_0 src1_sel:DWORD
	v_mul_u32_u24_sdwa v140, v140, s21 dst_sel:DWORD dst_unused:UNUSED_PAD src0_sel:WORD_1 src1_sel:DWORD
	v_pack_b32_f16 v141, v143, v141
	v_pk_fma_f16 v142, v142, v150, v140
	v_pk_fma_f16 v140, v141, v150, v140
	;; [unrolled: 1-line block ×5, first 2 shown]
	ds_read_u16 v140, v130 offset:280
	v_pk_fma_f16 v146, v142, v149, v146
	v_lshl_add_u64 v[142:143], v[106:107], 0, s[22:23]
	global_load_dword v142, v[142:143], off
	v_mul_u32_u24_e32 v148, 0x10001, v152
	s_waitcnt lgkmcnt(0)
	v_mul_u32_u24_e32 v149, 0x10001, v140
	v_lshl_add_u64 v[140:141], v[108:109], 0, s[22:23]
	global_load_dwordx2 v[140:141], v[140:141], off offset:-4
	v_lshl_add_u64 v[106:107], v[106:107], 0, s[52:53]
	v_lshl_add_u64 v[108:109], v[108:109], 0, s[52:53]
	s_waitcnt vmcnt(1)
	v_ashrrev_i32_e32 v142, v132, v142
	v_and_b32_e32 v142, 0xf0f0f0f, v142
	s_waitcnt vmcnt(0)
	v_lshrrev_b32_e32 v143, v131, v141
	v_lshlrev_b32_e32 v143, 4, v143
	v_and_or_b32 v142, v143, 16, v142
	v_lshrrev_b32_e32 v143, v133, v141
	v_lshrrev_b32_e32 v150, v134, v141
	;; [unrolled: 1-line block ×3, first 2 shown]
	v_lshlrev_b32_e32 v143, 12, v143
	v_lshlrev_b32_e32 v150, 20, v150
	;; [unrolled: 1-line block ×3, first 2 shown]
	v_and_or_b32 v143, v143, s4, v142
	v_and_b32_e32 v150, 0x100000, v150
	v_and_b32_e32 v141, 0x10000000, v141
	v_or3_b32 v141, v150, v141, v143
	v_lshrrev_b32_e32 v143, 8, v143
	v_and_b32_e32 v142, 31, v142
	v_and_b32_e32 v143, 31, v143
	v_cvt_f16_u16_e32 v142, v142
	v_cvt_f16_u16_e32 v143, v143
	v_pack_b32_f16 v142, v142, v143
	v_and_b32_sdwa v143, v141, v137 dst_sel:DWORD dst_unused:UNUSED_PAD src0_sel:WORD_1 src1_sel:DWORD
	v_cvt_f16_u16_sdwa v141, v141 dst_sel:DWORD dst_unused:UNUSED_PAD src0_sel:BYTE_3
	v_cvt_f16_u16_e32 v143, v143
	v_mul_u32_u24_sdwa v150, v140, s21 dst_sel:DWORD dst_unused:UNUSED_PAD src0_sel:WORD_0 src1_sel:DWORD
	v_mul_u32_u24_sdwa v140, v140, s21 dst_sel:DWORD dst_unused:UNUSED_PAD src0_sel:WORD_1 src1_sel:DWORD
	v_pack_b32_f16 v141, v143, v141
	v_pk_fma_f16 v142, v142, v150, v140
	v_pk_fma_f16 v140, v141, v150, v140
	v_pk_fma_f16 v145, v142, v148, v145
	v_pk_fma_f16 v144, v140, v148, v144
	v_pk_fma_f16 v147, v140, v149, v147
	ds_read_u16 v140, v130 offset:284
	v_pk_fma_f16 v146, v142, v149, v146
	v_lshl_add_u64 v[142:143], v[100:101], 0, s[22:23]
	global_load_dword v142, v[142:143], off
	v_mul_u32_u24_e32 v148, 0x10001, v153
	s_waitcnt lgkmcnt(0)
	v_mul_u32_u24_e32 v149, 0x10001, v140
	v_lshl_add_u64 v[140:141], v[104:105], 0, s[22:23]
	global_load_dwordx2 v[140:141], v[140:141], off offset:-4
	v_lshl_add_u64 v[100:101], v[100:101], 0, s[52:53]
	v_lshl_add_u64 v[104:105], v[104:105], 0, s[52:53]
	s_waitcnt vmcnt(1)
	v_ashrrev_i32_e32 v142, v132, v142
	v_and_b32_e32 v142, 0xf0f0f0f, v142
	s_waitcnt vmcnt(0)
	v_lshrrev_b32_e32 v143, v131, v141
	v_lshlrev_b32_e32 v143, 4, v143
	v_and_or_b32 v142, v143, 16, v142
	v_lshrrev_b32_e32 v143, v133, v141
	v_lshrrev_b32_e32 v150, v134, v141
	;; [unrolled: 1-line block ×3, first 2 shown]
	v_lshlrev_b32_e32 v143, 12, v143
	v_lshlrev_b32_e32 v150, 20, v150
	;; [unrolled: 1-line block ×3, first 2 shown]
	v_and_or_b32 v143, v143, s4, v142
	v_and_b32_e32 v150, 0x100000, v150
	v_and_b32_e32 v141, 0x10000000, v141
	v_or3_b32 v141, v150, v141, v143
	v_lshrrev_b32_e32 v143, 8, v143
	v_and_b32_e32 v142, 31, v142
	v_and_b32_e32 v143, 31, v143
	v_cvt_f16_u16_e32 v142, v142
	v_cvt_f16_u16_e32 v143, v143
	v_pack_b32_f16 v142, v142, v143
	v_and_b32_sdwa v143, v141, v137 dst_sel:DWORD dst_unused:UNUSED_PAD src0_sel:WORD_1 src1_sel:DWORD
	v_cvt_f16_u16_sdwa v141, v141 dst_sel:DWORD dst_unused:UNUSED_PAD src0_sel:BYTE_3
	v_cvt_f16_u16_e32 v143, v143
	v_mul_u32_u24_sdwa v150, v140, s21 dst_sel:DWORD dst_unused:UNUSED_PAD src0_sel:WORD_0 src1_sel:DWORD
	v_mul_u32_u24_sdwa v140, v140, s21 dst_sel:DWORD dst_unused:UNUSED_PAD src0_sel:WORD_1 src1_sel:DWORD
	v_pack_b32_f16 v141, v143, v141
	v_pk_fma_f16 v142, v142, v150, v140
	v_pk_fma_f16 v140, v141, v150, v140
	;; [unrolled: 1-line block ×5, first 2 shown]
	ds_read_u16 v140, v129 offset:288
	v_pk_fma_f16 v146, v142, v149, v146
	v_lshl_add_u64 v[142:143], v[94:95], 0, s[22:23]
	global_load_dword v142, v[142:143], off
	v_lshl_add_u64 v[94:95], v[94:95], 0, s[52:53]
	s_waitcnt lgkmcnt(0)
	v_mul_u32_u24_e32 v148, 0x10001, v140
	v_lshl_add_u64 v[140:141], v[98:99], 0, s[22:23]
	global_load_dwordx2 v[140:141], v[140:141], off offset:-4
	v_lshl_add_u64 v[98:99], v[98:99], 0, s[52:53]
	s_waitcnt vmcnt(1)
	v_ashrrev_i32_e32 v142, v132, v142
	v_and_b32_e32 v142, 0xf0f0f0f, v142
	s_waitcnt vmcnt(0)
	v_lshrrev_b32_e32 v143, v131, v141
	v_lshlrev_b32_e32 v143, 4, v143
	v_and_or_b32 v142, v143, 16, v142
	v_lshrrev_b32_e32 v143, v133, v141
	v_lshrrev_b32_e32 v149, v134, v141
	;; [unrolled: 1-line block ×3, first 2 shown]
	v_lshlrev_b32_e32 v143, 12, v143
	v_lshlrev_b32_e32 v149, 20, v149
	;; [unrolled: 1-line block ×3, first 2 shown]
	v_and_or_b32 v143, v143, s4, v142
	v_and_b32_e32 v149, 0x100000, v149
	v_and_b32_e32 v141, 0x10000000, v141
	v_or3_b32 v141, v149, v141, v143
	v_lshrrev_b32_e32 v143, 8, v143
	v_and_b32_e32 v142, 31, v142
	v_and_b32_e32 v143, 31, v143
	v_cvt_f16_u16_e32 v142, v142
	v_cvt_f16_u16_e32 v143, v143
	v_mul_u32_u24_sdwa v149, v140, s21 dst_sel:DWORD dst_unused:UNUSED_PAD src0_sel:WORD_0 src1_sel:DWORD
	v_mul_u32_u24_sdwa v140, v140, s21 dst_sel:DWORD dst_unused:UNUSED_PAD src0_sel:WORD_1 src1_sel:DWORD
	v_pack_b32_f16 v142, v142, v143
	v_and_b32_sdwa v143, v141, v137 dst_sel:DWORD dst_unused:UNUSED_PAD src0_sel:WORD_1 src1_sel:DWORD
	v_pk_fma_f16 v142, v142, v149, v140
	v_cvt_f16_u16_sdwa v141, v141 dst_sel:DWORD dst_unused:UNUSED_PAD src0_sel:BYTE_3
	v_cvt_f16_u16_e32 v143, v143
	v_pack_b32_f16 v141, v143, v141
	v_pk_fma_f16 v143, v142, v139, v145
	v_pk_fma_f16 v142, v142, v148, v146
	v_mul_u32_u24_e32 v146, 0x10001, v138
	ds_read_u16 v138, v130 offset:292
	v_pk_fma_f16 v140, v141, v149, v140
	s_nop 0
	v_pk_fma_f16 v144, v140, v139, v144
	v_pk_fma_f16 v145, v140, v148, v147
	s_waitcnt lgkmcnt(0)
	v_mul_u32_u24_e32 v147, 0x10001, v138
	v_lshl_add_u64 v[138:139], v[92:93], 0, s[22:23]
	v_lshl_add_u64 v[140:141], v[88:89], 0, s[22:23]
	global_load_dword v140, v[140:141], off
	v_lshl_add_u64 v[88:89], v[88:89], 0, s[52:53]
	global_load_dwordx2 v[138:139], v[138:139], off offset:-4
	v_lshl_add_u64 v[92:93], v[92:93], 0, s[52:53]
	s_waitcnt vmcnt(1)
	v_ashrrev_i32_e32 v140, v132, v140
	v_and_b32_e32 v140, 0xf0f0f0f, v140
	s_waitcnt vmcnt(0)
	v_lshrrev_b32_e32 v141, v131, v139
	v_lshlrev_b32_e32 v141, 4, v141
	v_and_or_b32 v140, v141, 16, v140
	v_lshrrev_b32_e32 v141, v133, v139
	v_lshrrev_b32_e32 v148, v134, v139
	;; [unrolled: 1-line block ×3, first 2 shown]
	v_lshlrev_b32_e32 v141, 12, v141
	v_lshlrev_b32_e32 v148, 20, v148
	;; [unrolled: 1-line block ×3, first 2 shown]
	v_and_or_b32 v141, v141, s4, v140
	v_and_b32_e32 v148, 0x100000, v148
	v_and_b32_e32 v139, 0x10000000, v139
	v_or3_b32 v139, v148, v139, v141
	v_lshrrev_b32_e32 v141, 8, v141
	v_and_b32_e32 v140, 31, v140
	v_and_b32_e32 v141, 31, v141
	v_cvt_f16_u16_e32 v140, v140
	v_cvt_f16_u16_e32 v141, v141
	v_pack_b32_f16 v140, v140, v141
	v_and_b32_sdwa v141, v139, v137 dst_sel:DWORD dst_unused:UNUSED_PAD src0_sel:WORD_1 src1_sel:DWORD
	v_cvt_f16_u16_sdwa v139, v139 dst_sel:DWORD dst_unused:UNUSED_PAD src0_sel:BYTE_3
	v_cvt_f16_u16_e32 v141, v141
	v_mul_u32_u24_sdwa v148, v138, s21 dst_sel:DWORD dst_unused:UNUSED_PAD src0_sel:WORD_0 src1_sel:DWORD
	v_mul_u32_u24_sdwa v138, v138, s21 dst_sel:DWORD dst_unused:UNUSED_PAD src0_sel:WORD_1 src1_sel:DWORD
	v_pack_b32_f16 v139, v141, v139
	v_pk_fma_f16 v140, v140, v148, v138
	v_pk_fma_f16 v138, v139, v148, v138
	v_pk_fma_f16 v143, v140, v146, v143
	v_pk_fma_f16 v144, v138, v146, v144
	v_pk_fma_f16 v145, v138, v147, v145
	ds_read_u16 v138, v130 offset:296
	v_pk_fma_f16 v142, v140, v147, v142
	v_lshl_add_u64 v[140:141], v[82:83], 0, s[22:23]
	global_load_dword v140, v[140:141], off
	v_lshl_add_u64 v[82:83], v[82:83], 0, s[52:53]
	s_waitcnt lgkmcnt(0)
	v_mul_u32_u24_e32 v146, 0x10001, v138
	v_lshl_add_u64 v[138:139], v[86:87], 0, s[22:23]
	global_load_dwordx2 v[138:139], v[138:139], off offset:-4
	v_lshl_add_u64 v[86:87], v[86:87], 0, s[52:53]
	s_waitcnt vmcnt(1)
	v_ashrrev_i32_e32 v140, v132, v140
	v_and_b32_e32 v140, 0xf0f0f0f, v140
	s_waitcnt vmcnt(0)
	v_lshrrev_b32_e32 v141, v131, v139
	v_lshlrev_b32_e32 v141, 4, v141
	v_and_or_b32 v140, v141, 16, v140
	v_lshrrev_b32_e32 v141, v133, v139
	v_lshrrev_b32_e32 v147, v134, v139
	;; [unrolled: 1-line block ×3, first 2 shown]
	v_lshlrev_b32_e32 v141, 12, v141
	v_lshlrev_b32_e32 v147, 20, v147
	;; [unrolled: 1-line block ×3, first 2 shown]
	v_and_or_b32 v141, v141, s4, v140
	v_and_b32_e32 v147, 0x100000, v147
	v_and_b32_e32 v139, 0x10000000, v139
	v_or3_b32 v139, v147, v139, v141
	v_lshrrev_b32_e32 v141, 8, v141
	v_and_b32_e32 v140, 31, v140
	v_and_b32_e32 v141, 31, v141
	v_cvt_f16_u16_e32 v140, v140
	v_cvt_f16_u16_e32 v141, v141
	v_pack_b32_f16 v140, v140, v141
	v_and_b32_sdwa v141, v139, v137 dst_sel:DWORD dst_unused:UNUSED_PAD src0_sel:WORD_1 src1_sel:DWORD
	v_cvt_f16_u16_sdwa v139, v139 dst_sel:DWORD dst_unused:UNUSED_PAD src0_sel:BYTE_3
	v_cvt_f16_u16_e32 v141, v141
	v_mul_u32_u24_sdwa v147, v138, s21 dst_sel:DWORD dst_unused:UNUSED_PAD src0_sel:WORD_0 src1_sel:DWORD
	v_mul_u32_u24_sdwa v138, v138, s21 dst_sel:DWORD dst_unused:UNUSED_PAD src0_sel:WORD_1 src1_sel:DWORD
	v_pack_b32_f16 v139, v141, v139
	v_pk_fma_f16 v140, v140, v147, v138
	v_pk_fma_f16 v138, v139, v147, v138
	;; [unrolled: 1-line block ×5, first 2 shown]
	v_mul_u32_u24_e32 v144, 0x10001, v114
	ds_read_u16 v114, v130 offset:300
	v_pk_fma_f16 v143, v138, v146, v145
	v_lshl_add_u64 v[138:139], v[76:77], 0, s[22:23]
	global_load_dword v138, v[138:139], off
	v_lshl_add_u64 v[76:77], v[76:77], 0, s[52:53]
	s_waitcnt lgkmcnt(0)
	v_mul_u32_u24_e32 v145, 0x10001, v114
	v_lshl_add_u64 v[114:115], v[80:81], 0, s[22:23]
	global_load_dwordx2 v[114:115], v[114:115], off offset:-4
	v_lshl_add_u64 v[80:81], v[80:81], 0, s[52:53]
	s_waitcnt vmcnt(1)
	v_ashrrev_i32_e32 v138, v132, v138
	v_and_b32_e32 v138, 0xf0f0f0f, v138
	s_waitcnt vmcnt(0)
	v_lshrrev_b32_e32 v139, v131, v115
	v_lshlrev_b32_e32 v139, 4, v139
	v_and_or_b32 v138, v139, 16, v138
	v_lshrrev_b32_e32 v139, v133, v115
	v_lshrrev_b32_e32 v146, v134, v115
	;; [unrolled: 1-line block ×3, first 2 shown]
	v_lshlrev_b32_e32 v139, 12, v139
	v_lshlrev_b32_e32 v146, 20, v146
	;; [unrolled: 1-line block ×3, first 2 shown]
	v_and_or_b32 v139, v139, s4, v138
	v_and_b32_e32 v146, 0x100000, v146
	v_and_b32_e32 v115, 0x10000000, v115
	v_or3_b32 v115, v146, v115, v139
	v_lshrrev_b32_e32 v139, 8, v139
	v_and_b32_e32 v138, 31, v138
	v_and_b32_e32 v139, 31, v139
	v_cvt_f16_u16_e32 v138, v138
	v_cvt_f16_u16_e32 v139, v139
	v_pack_b32_f16 v138, v138, v139
	v_and_b32_sdwa v139, v115, v137 dst_sel:DWORD dst_unused:UNUSED_PAD src0_sel:WORD_1 src1_sel:DWORD
	v_cvt_f16_u16_sdwa v115, v115 dst_sel:DWORD dst_unused:UNUSED_PAD src0_sel:BYTE_3
	v_cvt_f16_u16_e32 v139, v139
	v_mul_u32_u24_sdwa v146, v114, s21 dst_sel:DWORD dst_unused:UNUSED_PAD src0_sel:WORD_0 src1_sel:DWORD
	v_mul_u32_u24_sdwa v114, v114, s21 dst_sel:DWORD dst_unused:UNUSED_PAD src0_sel:WORD_1 src1_sel:DWORD
	v_pack_b32_f16 v115, v139, v115
	v_pk_fma_f16 v138, v138, v146, v114
	v_pk_fma_f16 v114, v115, v146, v114
	;; [unrolled: 1-line block ×5, first 2 shown]
	ds_read_u16 v114, v129 offset:304
	v_pk_fma_f16 v140, v138, v145, v140
	v_lshl_add_u64 v[138:139], v[70:71], 0, s[22:23]
	global_load_dword v138, v[138:139], off
	v_lshl_add_u64 v[70:71], v[70:71], 0, s[52:53]
	s_waitcnt lgkmcnt(0)
	v_mul_u32_u24_e32 v144, 0x10001, v114
	v_lshl_add_u64 v[114:115], v[74:75], 0, s[22:23]
	global_load_dwordx2 v[114:115], v[114:115], off offset:-4
	v_lshl_add_u64 v[74:75], v[74:75], 0, s[52:53]
	s_waitcnt vmcnt(1)
	v_ashrrev_i32_e32 v138, v132, v138
	v_and_b32_e32 v138, 0xf0f0f0f, v138
	s_waitcnt vmcnt(0)
	v_lshrrev_b32_e32 v139, v131, v115
	v_lshlrev_b32_e32 v139, 4, v139
	v_and_or_b32 v138, v139, 16, v138
	v_lshrrev_b32_e32 v139, v133, v115
	v_lshrrev_b32_e32 v145, v134, v115
	;; [unrolled: 1-line block ×3, first 2 shown]
	v_lshlrev_b32_e32 v139, 12, v139
	v_lshlrev_b32_e32 v145, 20, v145
	;; [unrolled: 1-line block ×3, first 2 shown]
	v_and_or_b32 v139, v139, s4, v138
	v_and_b32_e32 v145, 0x100000, v145
	v_and_b32_e32 v115, 0x10000000, v115
	v_or3_b32 v115, v145, v115, v139
	v_lshrrev_b32_e32 v139, 8, v139
	v_and_b32_e32 v138, 31, v138
	v_and_b32_e32 v139, 31, v139
	v_cvt_f16_u16_e32 v138, v138
	v_cvt_f16_u16_e32 v139, v139
	v_pack_b32_f16 v138, v138, v139
	v_and_b32_sdwa v139, v115, v137 dst_sel:DWORD dst_unused:UNUSED_PAD src0_sel:WORD_1 src1_sel:DWORD
	v_cvt_f16_u16_sdwa v115, v115 dst_sel:DWORD dst_unused:UNUSED_PAD src0_sel:BYTE_3
	v_cvt_f16_u16_e32 v139, v139
	v_mul_u32_u24_sdwa v145, v114, s21 dst_sel:DWORD dst_unused:UNUSED_PAD src0_sel:WORD_0 src1_sel:DWORD
	v_mul_u32_u24_sdwa v114, v114, s21 dst_sel:DWORD dst_unused:UNUSED_PAD src0_sel:WORD_1 src1_sel:DWORD
	v_pack_b32_f16 v115, v139, v115
	v_pk_fma_f16 v138, v138, v145, v114
	v_pk_fma_f16 v114, v115, v145, v114
	;; [unrolled: 1-line block ×5, first 2 shown]
	v_mul_u32_u24_e32 v142, 0x10001, v10
	ds_read_u16 v10, v130 offset:308
	v_pk_fma_f16 v141, v114, v144, v143
	v_lshl_add_u64 v[114:115], v[64:65], 0, s[22:23]
	global_load_dword v114, v[114:115], off
	v_lshl_add_u64 v[64:65], v[64:65], 0, s[52:53]
	s_waitcnt lgkmcnt(0)
	v_mul_u32_u24_e32 v143, 0x10001, v10
	v_lshl_add_u64 v[10:11], v[68:69], 0, s[22:23]
	global_load_dwordx2 v[10:11], v[10:11], off offset:-4
	v_lshl_add_u64 v[68:69], v[68:69], 0, s[52:53]
	s_waitcnt vmcnt(1)
	v_ashrrev_i32_e32 v114, v132, v114
	v_and_b32_e32 v114, 0xf0f0f0f, v114
	s_waitcnt vmcnt(0)
	v_lshrrev_b32_e32 v115, v131, v11
	v_lshlrev_b32_e32 v115, 4, v115
	v_and_or_b32 v114, v115, 16, v114
	v_lshrrev_b32_e32 v115, v133, v11
	v_lshrrev_b32_e32 v144, v134, v11
	;; [unrolled: 1-line block ×3, first 2 shown]
	v_lshlrev_b32_e32 v115, 12, v115
	v_lshlrev_b32_e32 v144, 20, v144
	;; [unrolled: 1-line block ×3, first 2 shown]
	v_and_or_b32 v115, v115, s4, v114
	v_and_b32_e32 v144, 0x100000, v144
	v_and_b32_e32 v11, 0x10000000, v11
	v_or3_b32 v11, v144, v11, v115
	v_lshrrev_b32_e32 v115, 8, v115
	v_and_b32_e32 v114, 31, v114
	v_and_b32_e32 v115, 31, v115
	v_cvt_f16_u16_e32 v114, v114
	v_cvt_f16_u16_e32 v115, v115
	v_pack_b32_f16 v114, v114, v115
	v_and_b32_sdwa v115, v11, v137 dst_sel:DWORD dst_unused:UNUSED_PAD src0_sel:WORD_1 src1_sel:DWORD
	v_cvt_f16_u16_sdwa v11, v11 dst_sel:DWORD dst_unused:UNUSED_PAD src0_sel:BYTE_3
	v_cvt_f16_u16_e32 v115, v115
	v_mul_u32_u24_sdwa v144, v10, s21 dst_sel:DWORD dst_unused:UNUSED_PAD src0_sel:WORD_0 src1_sel:DWORD
	v_mul_u32_u24_sdwa v10, v10, s21 dst_sel:DWORD dst_unused:UNUSED_PAD src0_sel:WORD_1 src1_sel:DWORD
	v_pack_b32_f16 v11, v115, v11
	v_pk_fma_f16 v114, v114, v144, v10
	v_pk_fma_f16 v10, v11, v144, v10
	;; [unrolled: 1-line block ×5, first 2 shown]
	ds_read_u16 v10, v130 offset:312
	v_pk_fma_f16 v138, v114, v143, v138
	v_lshl_add_u64 v[114:115], v[58:59], 0, s[22:23]
	global_load_dword v114, v[114:115], off
	v_lshl_add_u64 v[58:59], v[58:59], 0, s[52:53]
	s_waitcnt lgkmcnt(0)
	v_mul_u32_u24_e32 v142, 0x10001, v10
	v_lshl_add_u64 v[10:11], v[62:63], 0, s[22:23]
	global_load_dwordx2 v[10:11], v[10:11], off offset:-4
	v_lshl_add_u64 v[62:63], v[62:63], 0, s[52:53]
	s_waitcnt vmcnt(1)
	v_ashrrev_i32_e32 v114, v132, v114
	v_and_b32_e32 v114, 0xf0f0f0f, v114
	s_waitcnt vmcnt(0)
	v_lshrrev_b32_e32 v115, v131, v11
	v_lshlrev_b32_e32 v115, 4, v115
	v_and_or_b32 v114, v115, 16, v114
	v_lshrrev_b32_e32 v115, v133, v11
	v_lshrrev_b32_e32 v143, v134, v11
	;; [unrolled: 1-line block ×3, first 2 shown]
	v_lshlrev_b32_e32 v115, 12, v115
	v_lshlrev_b32_e32 v143, 20, v143
	;; [unrolled: 1-line block ×3, first 2 shown]
	v_and_or_b32 v115, v115, s4, v114
	v_and_b32_e32 v143, 0x100000, v143
	v_and_b32_e32 v11, 0x10000000, v11
	v_or3_b32 v11, v143, v11, v115
	v_lshrrev_b32_e32 v115, 8, v115
	v_and_b32_e32 v114, 31, v114
	v_and_b32_e32 v115, 31, v115
	v_cvt_f16_u16_e32 v114, v114
	v_cvt_f16_u16_e32 v115, v115
	v_pack_b32_f16 v114, v114, v115
	v_and_b32_sdwa v115, v11, v137 dst_sel:DWORD dst_unused:UNUSED_PAD src0_sel:WORD_1 src1_sel:DWORD
	v_cvt_f16_u16_sdwa v11, v11 dst_sel:DWORD dst_unused:UNUSED_PAD src0_sel:BYTE_3
	v_cvt_f16_u16_e32 v115, v115
	v_mul_u32_u24_sdwa v143, v10, s21 dst_sel:DWORD dst_unused:UNUSED_PAD src0_sel:WORD_0 src1_sel:DWORD
	v_mul_u32_u24_sdwa v10, v10, s21 dst_sel:DWORD dst_unused:UNUSED_PAD src0_sel:WORD_1 src1_sel:DWORD
	v_pack_b32_f16 v11, v115, v11
	v_pk_fma_f16 v114, v114, v143, v10
	v_pk_fma_f16 v10, v11, v143, v10
	;; [unrolled: 1-line block ×5, first 2 shown]
	v_mul_u32_u24_e32 v140, 0x10001, v8
	ds_read_u16 v8, v130 offset:316
	v_pk_fma_f16 v139, v10, v142, v141
	v_lshl_add_u64 v[10:11], v[52:53], 0, s[22:23]
	global_load_dword v10, v[10:11], off
	v_lshl_add_u64 v[52:53], v[52:53], 0, s[52:53]
	s_waitcnt lgkmcnt(0)
	v_mul_u32_u24_e32 v141, 0x10001, v8
	v_lshl_add_u64 v[8:9], v[56:57], 0, s[22:23]
	global_load_dwordx2 v[8:9], v[8:9], off offset:-4
	v_lshl_add_u64 v[56:57], v[56:57], 0, s[52:53]
	s_waitcnt vmcnt(1)
	v_ashrrev_i32_e32 v10, v132, v10
	v_and_b32_e32 v10, 0xf0f0f0f, v10
	s_waitcnt vmcnt(0)
	v_lshrrev_b32_e32 v11, v131, v9
	v_lshlrev_b32_e32 v11, 4, v11
	v_and_or_b32 v10, v11, 16, v10
	v_lshrrev_b32_e32 v11, v133, v9
	v_lshrrev_b32_e32 v142, v134, v9
	;; [unrolled: 1-line block ×3, first 2 shown]
	v_lshlrev_b32_e32 v11, 12, v11
	v_lshlrev_b32_e32 v142, 20, v142
	;; [unrolled: 1-line block ×3, first 2 shown]
	v_and_or_b32 v11, v11, s4, v10
	v_and_b32_e32 v142, 0x100000, v142
	v_and_b32_e32 v9, 0x10000000, v9
	v_or3_b32 v9, v142, v9, v11
	v_lshrrev_b32_e32 v11, 8, v11
	v_and_b32_e32 v10, 31, v10
	v_and_b32_e32 v11, 31, v11
	v_cvt_f16_u16_e32 v10, v10
	v_cvt_f16_u16_e32 v11, v11
	v_pack_b32_f16 v10, v10, v11
	v_and_b32_sdwa v11, v9, v137 dst_sel:DWORD dst_unused:UNUSED_PAD src0_sel:WORD_1 src1_sel:DWORD
	v_cvt_f16_u16_sdwa v9, v9 dst_sel:DWORD dst_unused:UNUSED_PAD src0_sel:BYTE_3
	v_cvt_f16_u16_e32 v11, v11
	v_mul_u32_u24_sdwa v142, v8, s21 dst_sel:DWORD dst_unused:UNUSED_PAD src0_sel:WORD_0 src1_sel:DWORD
	v_mul_u32_u24_sdwa v8, v8, s21 dst_sel:DWORD dst_unused:UNUSED_PAD src0_sel:WORD_1 src1_sel:DWORD
	v_pack_b32_f16 v9, v11, v9
	v_pk_fma_f16 v10, v10, v142, v8
	v_pk_fma_f16 v11, v9, v142, v8
	;; [unrolled: 1-line block ×6, first 2 shown]
	s_cbranch_scc1 .LBB9_46
; %bb.44:                               ;   in Loop: Header=BB9_27 Depth=1
	v_mov_b32_e32 v139, v112
	v_mov_b32_e32 v138, v113
	s_branch .LBB9_27
.LBB9_45:
	v_mov_b32_e32 v112, 0xfeffffff
	v_mov_b32_e32 v113, v112
	;; [unrolled: 1-line block ×3, first 2 shown]
	s_branch .LBB9_47
.LBB9_46:
	ds_write_b128 v120, v[8:11]
.LBB9_47:
	s_cmp_eq_u64 s[24:25], 0
	s_cselect_b64 s[6:7], -1, 0
	s_cmp_lg_u32 s5, 0
	s_cselect_b64 s[8:9], -1, 0
	s_or_b64 s[6:7], s[8:9], s[6:7]
	s_nor_b64 s[0:1], s[6:7], s[0:1]
	s_and_saveexec_b64 s[8:9], s[0:1]
	s_cbranch_execz .LBB9_49
; %bb.48:
	s_ashr_i32 s37, s36, 31
	s_lshl_b64 s[0:1], s[36:37], 2
	s_add_u32 s0, s24, s0
	s_addc_u32 s1, s25, s1
	s_load_dword s4, s[0:1], 0x0
	v_cmp_eq_u32_e32 vcc, 1, v117
	s_mov_b32 s10, 0x3fb8aa3b
	v_cmp_eq_u32_e64 s[0:1], 0, v117
	v_cndmask_b32_e32 v0, v112, v113, vcc
	v_max_f32_e32 v1, v0, v0
	s_waitcnt lgkmcnt(0)
	v_max_f32_e64 v3, s4, s4
	v_max_f32_e32 v1, v3, v1
	v_sub_f32_e32 v0, v0, v1
	v_mul_f32_e32 v3, 0x3fb8aa3b, v0
	v_fma_f32 v4, v0, s10, -v3
	v_rndne_f32_e32 v5, v3
	v_fmac_f32_e32 v4, 0x32a5705f, v0
	v_sub_f32_e32 v3, v3, v5
	v_add_f32_e32 v3, v3, v4
	v_exp_f32_e32 v3, v3
	v_cvt_i32_f32_e32 v4, v5
	v_cndmask_b32_e32 v113, v113, v1, vcc
	v_cndmask_b32_e64 v112, v112, v1, s[0:1]
	v_sub_f32_e32 v1, s4, v1
	v_ldexp_f32 v3, v3, v4
	v_mul_f32_e32 v4, 0x3fb8aa3b, v1
	v_fma_f32 v6, v1, s10, -v4
	v_rndne_f32_e32 v7, v4
	v_fmac_f32_e32 v6, 0x32a5705f, v1
	v_sub_f32_e32 v4, v4, v7
	v_add_f32_e32 v4, v4, v6
	v_exp_f32_e32 v4, v4
	v_cvt_i32_f32_e32 v6, v7
	s_mov_b32 s11, 0xc2ce8ed0
	v_cmp_ngt_f32_e64 s[6:7], s11, v0
	s_mov_b32 s12, 0x42b17218
	v_mov_b32_e32 v7, 0x7f800000
	v_cndmask_b32_e64 v3, 0, v3, s[6:7]
	v_cmp_nlt_f32_e64 s[6:7], s12, v0
	v_ldexp_f32 v0, v4, v6
	v_lshl_add_u32 v2, v117, 3, v120
	v_cndmask_b32_e64 v3, v7, v3, s[6:7]
	v_cmp_ngt_f32_e64 s[6:7], s11, v1
	v_cvt_f16_f32_e32 v6, v3
	v_cndmask_b32_e32 v5, v12, v13, vcc
	v_cndmask_b32_e64 v0, 0, v0, s[6:7]
	v_cmp_nlt_f32_e64 s[6:7], s12, v1
	s_nop 1
	v_cndmask_b32_e64 v0, v7, v0, s[6:7]
	v_cmp_eq_u32_e64 s[6:7], 0, v116
	s_nop 1
	v_cndmask_b32_e64 v4, 0, v0, s[6:7]
	ds_read_b64 v[0:1], v2
	v_fmac_f32_e32 v4, v5, v3
	v_mul_u32_u24_e32 v3, 0x10001, v6
	v_cndmask_b32_e32 v13, v13, v4, vcc
	v_cndmask_b32_e64 v12, v12, v4, s[0:1]
	s_waitcnt lgkmcnt(0)
	v_pk_mul_f16 v0, v0, v3
	v_pk_mul_f16 v1, v1, v3
	ds_write_b64 v2, v[0:1]
.LBB9_49:
	s_or_b64 exec, exec, s[8:9]
	v_cmp_eq_u32_e32 vcc, 0, v117
	v_add_u32_e32 v2, 0x500, v121
	v_add_u32_e32 v8, 0x400, v121
	s_and_saveexec_b64 s[0:1], vcc
	s_cbranch_execz .LBB9_51
; %bb.50:
	v_mov_b32_e32 v0, 0xfeffffff
	v_mov_b32_e32 v1, 0
	ds_write2_b32 v8, v0, v0 offset1:32
	ds_write2_b32 v2, v1, v1 offset1:32
.LBB9_51:
	s_or_b64 exec, exec, s[0:1]
	v_cmp_eq_u32_e64 s[0:1], 0, v116
	s_waitcnt lgkmcnt(0)
	s_barrier
	s_and_saveexec_b64 s[6:7], s[0:1]
; %bb.52:
	v_lshlrev_b32_e32 v0, 2, v117
	v_add_u32_e32 v0, 0x400, v0
	ds_write2_b32 v0, v112, v113 offset1:32
; %bb.53:
	s_or_b64 exec, exec, s[6:7]
	s_cmp_lt_i32 s33, s34
	s_waitcnt lgkmcnt(0)
	s_barrier
	s_cbranch_scc1 .LBB9_55
; %bb.54:
	s_add_u32 s8, s2, 0xd0
	s_addc_u32 s9, s3, 0
	s_mul_i32 s70, s70, s34
	s_cbranch_execz .LBB9_56
	s_branch .LBB9_68
.LBB9_55:
                                        ; implicit-def: $sgpr8_sgpr9
	s_mul_i32 s70, s70, s34
.LBB9_56:
	v_mbcnt_hi_u32_b32 v0, -1, v123
	v_and_b32_e32 v1, 0x60, v0
	ds_read_b32 v4, v8
	v_add_u32_e32 v1, 32, v1
	v_xor_b32_e32 v3, 16, v0
	v_cmp_lt_i32_e32 vcc, v3, v1
	s_mov_b32 s4, 0x3fb8aa3b
	s_nop 0
	v_cndmask_b32_e32 v3, v0, v3, vcc
	v_lshlrev_b32_e32 v7, 2, v3
	s_waitcnt lgkmcnt(0)
	ds_bpermute_b32 v5, v7, v4
	v_xor_b32_e32 v3, 8, v0
	v_cmp_lt_i32_e32 vcc, v3, v1
	v_max_f32_e32 v4, v4, v4
	s_waitcnt lgkmcnt(0)
	v_max_f32_e32 v5, v5, v5
	v_cndmask_b32_e32 v3, v0, v3, vcc
	v_lshlrev_b32_e32 v3, 2, v3
	v_max_f32_e32 v4, v4, v5
	ds_bpermute_b32 v6, v3, v4
	v_xor_b32_e32 v5, 4, v0
	v_cmp_lt_i32_e32 vcc, v5, v1
	s_waitcnt lgkmcnt(0)
	v_max_f32_e32 v6, v6, v6
	v_cndmask_b32_e32 v5, v0, v5, vcc
	v_lshlrev_b32_e32 v5, 2, v5
	v_max_f32_e32 v4, v4, v6
	ds_bpermute_b32 v9, v5, v4
	v_xor_b32_e32 v6, 2, v0
	v_cmp_lt_i32_e32 vcc, v6, v1
	;; [unrolled: 8-line block ×3, first 2 shown]
	s_nop 1
	v_cndmask_b32_e32 v0, v0, v4, vcc
	v_lshlrev_b32_e32 v4, 2, v0
	s_waitcnt lgkmcnt(0)
	v_max_f32_e32 v0, v10, v10
	v_max_f32_e32 v0, v9, v0
	ds_bpermute_b32 v1, v4, v0
	s_waitcnt lgkmcnt(0)
	v_max_f32_e32 v1, v1, v1
	v_max_f32_e32 v0, v0, v1
	v_sub_f32_e32 v1, v112, v0
	v_mul_f32_e32 v9, 0x3fb8aa3b, v1
	v_fma_f32 v10, v1, s4, -v9
	v_rndne_f32_e32 v11, v9
	v_fmamk_f32 v10, v1, 0x32a5705f, v10
	v_sub_f32_e32 v9, v9, v11
	v_add_f32_e32 v9, v9, v10
	v_exp_f32_e32 v9, v9
	v_cvt_i32_f32_e32 v10, v11
	s_mov_b32 s4, 0xc2ce8ed0
	v_cmp_ngt_f32_e32 vcc, s4, v1
	s_mov_b32 s4, 0x42b17218
	v_ldexp_f32 v9, v9, v10
	v_cndmask_b32_e32 v9, 0, v9, vcc
	v_mov_b32_e32 v10, 0x7f800000
	v_cmp_nlt_f32_e32 vcc, s4, v1
	s_movk_i32 s4, 0x78
	s_nop 0
	v_cndmask_b32_e32 v1, v10, v9, vcc
	v_mul_f32_e32 v9, v12, v1
	ds_bpermute_b32 v10, v7, v9
	v_mov_b32_e32 v9, 0x500
	v_lshl_add_u32 v9, v117, 2, v9
	s_waitcnt lgkmcnt(0)
	v_fmac_f32_e32 v10, v12, v1
	ds_bpermute_b32 v11, v3, v10
	v_lshlrev_b32_e32 v12, 3, v116
	v_and_b32_e32 v14, 0x380, v12
	v_lshl_add_u32 v16, v117, 8, v14
	v_cvt_f16_f32_e32 v1, v1
	s_waitcnt lgkmcnt(0)
	v_add_f32_e32 v10, v10, v11
	ds_bpermute_b32 v11, v5, v10
	ds_read_b64 v[14:15], v120
	v_mul_u32_u24_e32 v1, 0x10001, v1
	s_waitcnt lgkmcnt(1)
	v_add_f32_e32 v11, v10, v11
	ds_bpermute_b32 v17, v6, v11
	v_and_or_b32 v10, v12, s4, v16
	s_waitcnt lgkmcnt(1)
	v_pk_mul_f16 v14, v14, v1
	v_pk_mul_f16 v15, v15, v1
	ds_write_b64 v120, v[14:15]
	ds_write_b64 v10, v[14:15]
	s_waitcnt lgkmcnt(2)
	v_add_f32_e32 v11, v11, v17
	ds_bpermute_b32 v12, v4, v11
	s_waitcnt lgkmcnt(0)
	v_add_f32_e32 v12, v11, v12
	s_and_saveexec_b64 s[6:7], s[0:1]
; %bb.57:
	ds_write_b32 v9, v12
; %bb.58:
	s_or_b64 exec, exec, s[6:7]
	s_add_u32 s8, s2, 0xd0
	v_cmp_gt_u32_e64 s[6:7], 64, v118
	s_addc_u32 s9, s3, 0
	s_add_i32 s4, s33, s70
	s_waitcnt lgkmcnt(0)
	s_barrier
	s_and_saveexec_b64 s[2:3], s[6:7]
	s_cbranch_execz .LBB9_60
; %bb.59:
	ds_read_b32 v15, v2
	ds_read_u16 v1, v119
	ds_read_u16 v11, v119 offset:128
	ds_read_u16 v12, v119 offset:256
	;; [unrolled: 1-line block ×6, first 2 shown]
	s_waitcnt lgkmcnt(6)
	v_cvt_f32_f16_e32 v1, v1
	s_waitcnt lgkmcnt(5)
	v_cvt_f32_f16_e32 v11, v11
	ds_bpermute_b32 v17, v7, v15
	s_waitcnt lgkmcnt(5)
	v_cvt_f32_f16_e32 v12, v12
	s_waitcnt lgkmcnt(4)
	v_cvt_f32_f16_e32 v16, v14
	v_add_f32_e32 v1, 0, v1
	v_add_f32_e32 v1, v1, v11
	;; [unrolled: 1-line block ×3, first 2 shown]
	s_waitcnt lgkmcnt(0)
	v_pk_add_f32 v[14:15], v[14:15], v[16:17]
	ds_bpermute_b32 v17, v3, v15
	v_cvt_f32_f16_e32 v16, v18
	ds_read_u16 v1, v119 offset:896
	s_load_dword s12, s[8:9], 0x4
	s_mul_i32 s10, s4, s35
	s_waitcnt lgkmcnt(0)
	v_pk_add_f32 v[14:15], v[14:15], v[16:17]
	ds_bpermute_b32 v17, v5, v15
	v_cvt_f32_f16_e32 v16, v19
	s_add_i32 s10, s10, s36
	s_mul_i32 s10, s12, s10
	s_add_i32 s13, s10, s5
	s_waitcnt lgkmcnt(0)
	v_pk_add_f32 v[14:15], v[14:15], v[16:17]
	ds_bpermute_b32 v17, v6, v15
	v_cvt_f32_f16_e32 v16, v20
	v_mov_b32_e32 v19, 0
	v_lshl_or_b32 v18, s13, 6, v118
	s_cmp_eq_u32 s12, 1
	s_waitcnt lgkmcnt(0)
	v_pk_add_f32 v[14:15], v[14:15], v[16:17]
	ds_bpermute_b32 v17, v4, v15
	v_cvt_f32_f16_e32 v16, v1
	s_waitcnt lgkmcnt(0)
	v_pk_add_f32 v[14:15], v[14:15], v[16:17]
	s_nop 0
	v_div_scale_f32 v1, s[10:11], v15, v15, v14
	v_rcp_f32_e32 v11, v1
	v_lshl_add_u64 v[16:17], v[18:19], 2, s[28:29]
	v_fma_f32 v12, -v1, v11, 1.0
	v_fmac_f32_e32 v11, v12, v11
	v_div_scale_f32 v12, vcc, v14, v15, v14
	v_mul_f32_e32 v18, v12, v11
	v_fma_f32 v19, -v1, v18, v12
	v_fmac_f32_e32 v18, v19, v11
	v_fma_f32 v1, -v1, v18, v12
	v_div_fmas_f32 v1, v1, v11, v18
	v_div_fixup_f32 v1, v1, v15, v14
	s_cselect_b64 vcc, -1, 0
	v_cndmask_b32_e32 v1, v14, v1, vcc
	v_mov_b32_e32 v12, v15
	global_store_dword v[16:17], v1, off
.LBB9_60:
	s_or_b64 exec, exec, s[2:3]
	s_or_b32 s2, s33, 1
	s_cmp_ge_i32 s2, s34
	s_barrier
	s_cbranch_scc1 .LBB9_66
; %bb.61:
	ds_read_b32 v1, v8 offset:128
	s_mov_b32 s2, 0x3fb8aa3b
	s_mov_b32 s3, 0x42b17218
	s_waitcnt lgkmcnt(0)
	ds_bpermute_b32 v8, v7, v1
	v_max_f32_e32 v1, v1, v1
	s_waitcnt lgkmcnt(0)
	v_max_f32_e32 v8, v8, v8
	v_max_f32_e32 v1, v1, v8
	ds_bpermute_b32 v8, v3, v1
	s_waitcnt lgkmcnt(0)
	v_max_f32_e32 v8, v8, v8
	v_max_f32_e32 v1, v1, v8
	ds_bpermute_b32 v8, v5, v1
	s_waitcnt lgkmcnt(0)
	v_max_f32_e32 v8, v8, v8
	v_max_f32_e32 v1, v1, v8
	ds_bpermute_b32 v8, v6, v1
	s_waitcnt lgkmcnt(0)
	v_max_f32_e32 v8, v8, v8
	v_max_f32_e32 v1, v1, v8
	ds_bpermute_b32 v8, v4, v1
	s_waitcnt lgkmcnt(0)
	v_max_f32_e32 v8, v8, v8
	v_max_f32_e32 v1, v1, v8
	v_sub_f32_e32 v8, v113, v1
	v_mul_f32_e32 v11, 0x3fb8aa3b, v8
	v_fma_f32 v14, v8, s2, -v11
	v_rndne_f32_e32 v15, v11
	v_fmamk_f32 v14, v8, 0x32a5705f, v14
	v_sub_f32_e32 v11, v11, v15
	v_add_f32_e32 v11, v11, v14
	v_cvt_i32_f32_e32 v15, v15
	v_exp_f32_e32 v11, v11
	s_mov_b32 s2, 0xc2ce8ed0
	v_cmp_ngt_f32_e32 vcc, s2, v8
	v_mov_b32_e32 v14, 0x7f800000
	v_ldexp_f32 v11, v11, v15
	v_cndmask_b32_e32 v11, 0, v11, vcc
	v_cmp_nlt_f32_e32 vcc, s3, v8
	s_nop 1
	v_cndmask_b32_e32 v8, v14, v11, vcc
	v_mul_f32_e32 v11, v13, v8
	ds_bpermute_b32 v11, v7, v11
	ds_read_b64 v[14:15], v120 offset:8
	s_waitcnt lgkmcnt(1)
	v_fmac_f32_e32 v11, v13, v8
	ds_bpermute_b32 v13, v3, v11
	v_cvt_f16_f32_e32 v8, v8
	s_waitcnt lgkmcnt(0)
	v_add_f32_e32 v11, v11, v13
	ds_bpermute_b32 v13, v5, v11
	v_mul_u32_u24_e32 v8, 0x10001, v8
	v_pk_mul_f16 v14, v14, v8
	v_pk_mul_f16 v15, v15, v8
	ds_write_b64 v120, v[14:15] offset:8
	ds_write_b64 v10, v[14:15]
	s_waitcnt lgkmcnt(2)
	v_add_f32_e32 v11, v11, v13
	ds_bpermute_b32 v13, v6, v11
	s_waitcnt lgkmcnt(0)
	v_add_f32_e32 v11, v11, v13
	ds_bpermute_b32 v13, v4, v11
	s_waitcnt lgkmcnt(0)
	v_add_f32_e32 v13, v11, v13
	s_and_saveexec_b64 s[2:3], s[0:1]
; %bb.62:
	ds_write_b32 v9, v13 offset:128
; %bb.63:
	s_or_b64 exec, exec, s[2:3]
	s_waitcnt lgkmcnt(0)
	s_barrier
	s_and_saveexec_b64 s[0:1], s[6:7]
	s_cbranch_execz .LBB9_65
; %bb.64:
	ds_read_b32 v9, v2 offset:128
	ds_read_u16 v2, v119
	ds_read_u16 v8, v119 offset:128
	ds_read_u16 v10, v119 offset:256
	;; [unrolled: 1-line block ×6, first 2 shown]
	s_waitcnt lgkmcnt(6)
	v_cvt_f32_f16_e32 v2, v2
	ds_bpermute_b32 v11, v7, v9
	s_waitcnt lgkmcnt(6)
	v_cvt_f32_f16_e32 v7, v8
	s_waitcnt lgkmcnt(5)
	v_cvt_f32_f16_e32 v8, v10
	;; [unrolled: 2-line block ×3, first 2 shown]
	v_add_f32_e32 v2, 0, v2
	v_add_f32_e32 v2, v2, v7
	;; [unrolled: 1-line block ×3, first 2 shown]
	s_waitcnt lgkmcnt(0)
	v_pk_add_f32 v[8:9], v[8:9], v[10:11]
	ds_bpermute_b32 v3, v3, v9
	v_cvt_f32_f16_e32 v2, v14
	s_load_dword s6, s[8:9], 0x4
	s_add_i32 s2, s4, 1
	s_mul_i32 s2, s2, s35
	s_waitcnt lgkmcnt(0)
	v_pk_add_f32 v[2:3], v[8:9], v[2:3]
	ds_bpermute_b32 v9, v5, v3
	v_cvt_f32_f16_e32 v8, v15
	s_add_i32 s2, s2, s36
	s_mul_i32 s2, s6, s2
	s_add_i32 s2, s2, s5
	s_waitcnt lgkmcnt(0)
	v_pk_add_f32 v[2:3], v[2:3], v[8:9]
	ds_bpermute_b32 v7, v6, v3
	v_cvt_f32_f16_e32 v6, v16
	ds_read_u16 v8, v119 offset:896
	s_cmp_eq_u32 s6, 1
	s_waitcnt lgkmcnt(1)
	v_pk_add_f32 v[2:3], v[2:3], v[6:7]
	ds_bpermute_b32 v5, v4, v3
	s_waitcnt lgkmcnt(1)
	v_cvt_f32_f16_e32 v4, v8
	v_lshl_or_b32 v6, s2, 6, v118
	v_mov_b32_e32 v7, 0
	s_waitcnt lgkmcnt(0)
	v_pk_add_f32 v[2:3], v[2:3], v[4:5]
	s_nop 0
	v_div_scale_f32 v8, s[2:3], v3, v3, v2
	v_rcp_f32_e32 v9, v8
	v_lshl_add_u64 v[4:5], v[6:7], 2, s[28:29]
	v_mov_b32_e32 v13, v3
	v_fma_f32 v6, -v8, v9, 1.0
	v_fmac_f32_e32 v9, v6, v9
	v_div_scale_f32 v6, vcc, v2, v3, v2
	v_mul_f32_e32 v7, v6, v9
	v_fma_f32 v10, -v8, v7, v6
	v_fmac_f32_e32 v7, v10, v9
	v_fma_f32 v6, -v8, v7, v6
	v_div_fmas_f32 v6, v6, v9, v7
	v_div_fixup_f32 v6, v6, v3, v2
	s_cselect_b64 vcc, -1, 0
	v_cndmask_b32_e32 v2, v2, v6, vcc
	global_store_dword v[4:5], v2, off
.LBB9_65:
	s_or_b64 exec, exec, s[0:1]
	s_branch .LBB9_67
.LBB9_66:
	v_mov_b32_e32 v1, v113
.LBB9_67:
	v_mov_b64_e32 v[112:113], v[0:1]
.LBB9_68:
	s_load_dword s0, s[8:9], 0x4
	v_cmp_gt_u32_e32 vcc, 2, v118
	v_or_b32_e32 v0, s33, v116
	s_waitcnt lgkmcnt(0)
	s_cmp_lg_u32 s0, 1
	s_cselect_b64 s[2:3], -1, 0
	s_and_b64 s[2:3], s[2:3], vcc
	v_cmp_gt_i32_e32 vcc, s34, v0
	s_and_b64 s[2:3], s[2:3], vcc
	s_and_saveexec_b64 s[6:7], s[2:3]
	s_cbranch_execz .LBB9_70
; %bb.69:
	v_add_u32_e32 v0, s70, v0
	v_mul_lo_u32 v0, v0, s35
	v_add_u32_e32 v0, s36, v0
	v_mul_lo_u32 v0, s0, v0
	v_mov_b32_e32 v2, s30
	v_mov_b32_e32 v3, s31
	v_cmp_eq_u32_e32 vcc, 1, v118
	v_add_u32_e32 v0, s5, v0
	v_mov_b32_e32 v1, 0
	v_cndmask_b32_e32 v4, v112, v113, vcc
	v_cndmask_b32_e32 v5, v12, v13, vcc
	v_lshl_add_u64 v[0:1], v[0:1], 3, v[2:3]
	global_store_dwordx2 v[0:1], v[4:5], off
.LBB9_70:
	s_endpgm
	.section	.rodata,"a",@progbits
	.p2align	6, 0x0
	.amdhsa_kernel _ZL18flash_attn_ext_vecILi64ELi2EL9ggml_type7ELS0_7ELb0EEvPKcS2_S2_S2_S2_PKiPfP15HIP_vector_typeIfLj2EEffffjfiS6_IjLj3EEiiiiiiiiiiiliiliiiiil
		.amdhsa_group_segment_fixed_size 3584
		.amdhsa_private_segment_fixed_size 0
		.amdhsa_kernarg_size 464
		.amdhsa_user_sgpr_count 4
		.amdhsa_user_sgpr_dispatch_ptr 1
		.amdhsa_user_sgpr_queue_ptr 0
		.amdhsa_user_sgpr_kernarg_segment_ptr 1
		.amdhsa_user_sgpr_dispatch_id 0
		.amdhsa_user_sgpr_kernarg_preload_length 0
		.amdhsa_user_sgpr_kernarg_preload_offset 0
		.amdhsa_user_sgpr_private_segment_size 0
		.amdhsa_uses_dynamic_stack 0
		.amdhsa_enable_private_segment 0
		.amdhsa_system_sgpr_workgroup_id_x 1
		.amdhsa_system_sgpr_workgroup_id_y 1
		.amdhsa_system_sgpr_workgroup_id_z 1
		.amdhsa_system_sgpr_workgroup_info 0
		.amdhsa_system_vgpr_workitem_id 2
		.amdhsa_next_free_vgpr 164
		.amdhsa_next_free_sgpr 72
		.amdhsa_accum_offset 164
		.amdhsa_reserve_vcc 1
		.amdhsa_float_round_mode_32 0
		.amdhsa_float_round_mode_16_64 0
		.amdhsa_float_denorm_mode_32 3
		.amdhsa_float_denorm_mode_16_64 3
		.amdhsa_dx10_clamp 1
		.amdhsa_ieee_mode 1
		.amdhsa_fp16_overflow 0
		.amdhsa_tg_split 0
		.amdhsa_exception_fp_ieee_invalid_op 0
		.amdhsa_exception_fp_denorm_src 0
		.amdhsa_exception_fp_ieee_div_zero 0
		.amdhsa_exception_fp_ieee_overflow 0
		.amdhsa_exception_fp_ieee_underflow 0
		.amdhsa_exception_fp_ieee_inexact 0
		.amdhsa_exception_int_div_zero 0
	.end_amdhsa_kernel
	.section	.text._ZL18flash_attn_ext_vecILi64ELi2EL9ggml_type7ELS0_7ELb0EEvPKcS2_S2_S2_S2_PKiPfP15HIP_vector_typeIfLj2EEffffjfiS6_IjLj3EEiiiiiiiiiiiliiliiiiil,"axG",@progbits,_ZL18flash_attn_ext_vecILi64ELi2EL9ggml_type7ELS0_7ELb0EEvPKcS2_S2_S2_S2_PKiPfP15HIP_vector_typeIfLj2EEffffjfiS6_IjLj3EEiiiiiiiiiiiliiliiiiil,comdat
.Lfunc_end9:
	.size	_ZL18flash_attn_ext_vecILi64ELi2EL9ggml_type7ELS0_7ELb0EEvPKcS2_S2_S2_S2_PKiPfP15HIP_vector_typeIfLj2EEffffjfiS6_IjLj3EEiiiiiiiiiiiliiliiiiil, .Lfunc_end9-_ZL18flash_attn_ext_vecILi64ELi2EL9ggml_type7ELS0_7ELb0EEvPKcS2_S2_S2_S2_PKiPfP15HIP_vector_typeIfLj2EEffffjfiS6_IjLj3EEiiiiiiiiiiiliiliiiiil
                                        ; -- End function
	.set _ZL18flash_attn_ext_vecILi64ELi2EL9ggml_type7ELS0_7ELb0EEvPKcS2_S2_S2_S2_PKiPfP15HIP_vector_typeIfLj2EEffffjfiS6_IjLj3EEiiiiiiiiiiiliiliiiiil.num_vgpr, 164
	.set _ZL18flash_attn_ext_vecILi64ELi2EL9ggml_type7ELS0_7ELb0EEvPKcS2_S2_S2_S2_PKiPfP15HIP_vector_typeIfLj2EEffffjfiS6_IjLj3EEiiiiiiiiiiiliiliiiiil.num_agpr, 0
	.set _ZL18flash_attn_ext_vecILi64ELi2EL9ggml_type7ELS0_7ELb0EEvPKcS2_S2_S2_S2_PKiPfP15HIP_vector_typeIfLj2EEffffjfiS6_IjLj3EEiiiiiiiiiiiliiliiiiil.numbered_sgpr, 72
	.set _ZL18flash_attn_ext_vecILi64ELi2EL9ggml_type7ELS0_7ELb0EEvPKcS2_S2_S2_S2_PKiPfP15HIP_vector_typeIfLj2EEffffjfiS6_IjLj3EEiiiiiiiiiiiliiliiiiil.num_named_barrier, 0
	.set _ZL18flash_attn_ext_vecILi64ELi2EL9ggml_type7ELS0_7ELb0EEvPKcS2_S2_S2_S2_PKiPfP15HIP_vector_typeIfLj2EEffffjfiS6_IjLj3EEiiiiiiiiiiiliiliiiiil.private_seg_size, 0
	.set _ZL18flash_attn_ext_vecILi64ELi2EL9ggml_type7ELS0_7ELb0EEvPKcS2_S2_S2_S2_PKiPfP15HIP_vector_typeIfLj2EEffffjfiS6_IjLj3EEiiiiiiiiiiiliiliiiiil.uses_vcc, 1
	.set _ZL18flash_attn_ext_vecILi64ELi2EL9ggml_type7ELS0_7ELb0EEvPKcS2_S2_S2_S2_PKiPfP15HIP_vector_typeIfLj2EEffffjfiS6_IjLj3EEiiiiiiiiiiiliiliiiiil.uses_flat_scratch, 0
	.set _ZL18flash_attn_ext_vecILi64ELi2EL9ggml_type7ELS0_7ELb0EEvPKcS2_S2_S2_S2_PKiPfP15HIP_vector_typeIfLj2EEffffjfiS6_IjLj3EEiiiiiiiiiiiliiliiiiil.has_dyn_sized_stack, 0
	.set _ZL18flash_attn_ext_vecILi64ELi2EL9ggml_type7ELS0_7ELb0EEvPKcS2_S2_S2_S2_PKiPfP15HIP_vector_typeIfLj2EEffffjfiS6_IjLj3EEiiiiiiiiiiiliiliiiiil.has_recursion, 0
	.set _ZL18flash_attn_ext_vecILi64ELi2EL9ggml_type7ELS0_7ELb0EEvPKcS2_S2_S2_S2_PKiPfP15HIP_vector_typeIfLj2EEffffjfiS6_IjLj3EEiiiiiiiiiiiliiliiiiil.has_indirect_call, 0
	.section	.AMDGPU.csdata,"",@progbits
; Kernel info:
; codeLenInByte = 15872
; TotalNumSgprs: 78
; NumVgprs: 164
; NumAgprs: 0
; TotalNumVgprs: 164
; ScratchSize: 0
; MemoryBound: 0
; FloatMode: 240
; IeeeMode: 1
; LDSByteSize: 3584 bytes/workgroup (compile time only)
; SGPRBlocks: 9
; VGPRBlocks: 20
; NumSGPRsForWavesPerEU: 78
; NumVGPRsForWavesPerEU: 164
; AccumOffset: 164
; Occupancy: 3
; WaveLimiterHint : 0
; COMPUTE_PGM_RSRC2:SCRATCH_EN: 0
; COMPUTE_PGM_RSRC2:USER_SGPR: 4
; COMPUTE_PGM_RSRC2:TRAP_HANDLER: 0
; COMPUTE_PGM_RSRC2:TGID_X_EN: 1
; COMPUTE_PGM_RSRC2:TGID_Y_EN: 1
; COMPUTE_PGM_RSRC2:TGID_Z_EN: 1
; COMPUTE_PGM_RSRC2:TIDIG_COMP_CNT: 2
; COMPUTE_PGM_RSRC3_GFX90A:ACCUM_OFFSET: 40
; COMPUTE_PGM_RSRC3_GFX90A:TG_SPLIT: 0
	.section	.text._ZL25flash_attn_mask_to_KV_maxILi2EEvPK7__half2Piiii,"axG",@progbits,_ZL25flash_attn_mask_to_KV_maxILi2EEvPK7__half2Piiii,comdat
	.globl	_ZL25flash_attn_mask_to_KV_maxILi2EEvPK7__half2Piiii ; -- Begin function _ZL25flash_attn_mask_to_KV_maxILi2EEvPK7__half2Piiii
	.p2align	8
	.type	_ZL25flash_attn_mask_to_KV_maxILi2EEvPK7__half2Piiii,@function
_ZL25flash_attn_mask_to_KV_maxILi2EEvPK7__half2Piiii: ; @_ZL25flash_attn_mask_to_KV_maxILi2EEvPK7__half2Piiii
; %bb.0:
	s_load_dwordx4 s[4:7], s[0:1], 0x0
	v_cmp_gt_u32_e32 vcc, 32, v0
	s_and_saveexec_b64 s[8:9], vcc
; %bb.1:
	v_lshlrev_b32_e32 v1, 2, v0
	v_mov_b32_e32 v2, 1
	ds_write_b32 v1, v2
; %bb.2:
	s_or_b64 exec, exec, s[8:9]
	s_load_dwordx4 s[8:11], s[0:1], 0x10
	s_load_dword s16, s[0:1], 0x20
	v_and_b32_e32 v2, 31, v0
	v_lshlrev_b32_e32 v4, 2, v2
	v_lshrrev_b32_e32 v1, 3, v0
	s_waitcnt lgkmcnt(0)
	s_mul_i32 s1, s2, s9
	s_mul_i32 s0, s10, s3
	s_lshl_b32 s1, s1, 1
	s_add_i32 s0, s0, s1
	s_ashr_i32 s1, s0, 31
	s_lshl_b64 s[0:1], s[0:1], 2
	s_add_u32 s10, s4, s0
	s_addc_u32 s11, s5, s1
	v_cmp_eq_u32_e64 s[0:1], 0, v2
	v_mbcnt_lo_u32_b32 v2, -1, 0
	v_mbcnt_hi_u32_b32 v5, -1, v2
	v_and_b32_e32 v2, 0x60, v5
	s_lshl_b32 s8, s8, 8
	s_mov_b64 s[12:13], 0
	v_mov_b32_e32 v3, 0
	s_movk_i32 s17, 0x204
	v_add_u32_e32 v6, 32, v2
	v_xor_b32_e32 v7, 16, v5
	v_xor_b32_e32 v8, 8, v5
	;; [unrolled: 1-line block ×5, first 2 shown]
	s_barrier
                                        ; implicit-def: $sgpr4_sgpr5
	s_branch .LBB10_5
.LBB10_3:                               ;   in Loop: Header=BB10_5 Depth=1
	s_or_b64 exec, exec, s[14:15]
	s_waitcnt lgkmcnt(0)
	s_barrier
	ds_read_b32 v16, v4
	s_waitcnt lgkmcnt(0)
	s_barrier
	ds_bpermute_b32 v2, v2, v16
	v_cmp_ne_u32_e32 vcc, 0, v16
	s_waitcnt lgkmcnt(0)
	v_cmp_ne_u32_e64 s[4:5], 0, v2
	s_and_b64 s[4:5], vcc, s[4:5]
	s_nop 0
	v_cndmask_b32_e64 v2, 0, 1, s[4:5]
	ds_bpermute_b32 v2, v12, v2
	s_waitcnt lgkmcnt(0)
	v_cmp_ne_u32_e32 vcc, 0, v2
	s_and_b64 s[4:5], vcc, s[4:5]
	v_cndmask_b32_e64 v2, 0, 1, s[4:5]
	ds_bpermute_b32 v2, v13, v2
	s_waitcnt lgkmcnt(0)
	v_cmp_ne_u32_e32 vcc, 0, v2
	s_and_b64 s[4:5], vcc, s[4:5]
	;; [unrolled: 5-line block ×3, first 2 shown]
	v_cndmask_b32_e64 v2, 0, 1, s[4:5]
	ds_bpermute_b32 v2, v15, v2
	s_xor_b64 s[4:5], s[4:5], -1
	s_waitcnt lgkmcnt(0)
	v_cmp_eq_u32_e32 vcc, 0, v2
	s_or_b64 s[4:5], vcc, s[4:5]
.LBB10_4:                               ;   in Loop: Header=BB10_5 Depth=1
	s_and_b64 s[14:15], exec, s[4:5]
	s_or_b64 s[12:13], s[14:15], s[12:13]
	v_mov_b32_e32 v2, s8
	s_mov_b32 s8, s18
	s_andn2_b64 exec, exec, s[12:13]
	s_cbranch_execz .LBB10_12
.LBB10_5:                               ; =>This Inner Loop Header: Depth=1
	s_add_i32 s18, s8, 0xffffff00
	s_or_b64 s[4:5], s[4:5], exec
	s_cmp_lt_i32 s18, 0
	s_cbranch_scc1 .LBB10_4
; %bb.6:                                ;   in Loop: Header=BB10_5 Depth=1
	s_lshr_b32 s4, s18, 1
	v_add_u32_e32 v2, s4, v0
	v_lshl_add_u64 v[12:13], v[2:3], 2, s[10:11]
	global_load_dword v12, v[12:13], off
	s_waitcnt vmcnt(0)
	v_cmp_class_f16_e64 s[4:5], v12, s17
	v_cmp_class_f16_sdwa s[14:15], v12, s17 src0_sel:WORD_1 src1_sel:DWORD
	s_and_b64 s[14:15], s[4:5], s[14:15]
	v_mov_b32_e32 v12, 0
	s_and_saveexec_b64 s[4:5], s[14:15]
	s_cbranch_execz .LBB10_10
; %bb.7:                                ;   in Loop: Header=BB10_5 Depth=1
	v_add_u32_e32 v12, s9, v2
	v_ashrrev_i32_e32 v13, 31, v12
	v_lshl_add_u64 v[12:13], v[12:13], 2, s[10:11]
	global_load_dword v2, v[12:13], off
	v_mov_b32_e32 v12, 0
	s_waitcnt vmcnt(0)
	v_cmp_class_f16_e64 s[20:21], v2, s17
	s_and_saveexec_b64 s[14:15], s[20:21]
; %bb.8:                                ;   in Loop: Header=BB10_5 Depth=1
	v_cmp_class_f16_sdwa s[20:21], v2, s17 src0_sel:WORD_1 src1_sel:DWORD
	s_nop 1
	v_cndmask_b32_e64 v12, 0, 1, s[20:21]
; %bb.9:                                ;   in Loop: Header=BB10_5 Depth=1
	s_or_b64 exec, exec, s[14:15]
.LBB10_10:                              ;   in Loop: Header=BB10_5 Depth=1
	s_or_b64 exec, exec, s[4:5]
	v_cmp_lt_i32_e32 vcc, v7, v6
	s_nop 1
	v_cndmask_b32_e32 v2, v5, v7, vcc
	v_lshlrev_b32_e32 v2, 2, v2
	ds_bpermute_b32 v13, v2, v12
	v_cmp_ne_u32_e32 vcc, 0, v12
	s_waitcnt lgkmcnt(0)
	v_cmp_ne_u32_e64 s[4:5], 0, v13
	s_and_b64 s[4:5], vcc, s[4:5]
	v_cmp_lt_i32_e32 vcc, v8, v6
	v_cndmask_b32_e64 v13, 0, 1, s[4:5]
	s_nop 0
	v_cndmask_b32_e32 v12, v5, v8, vcc
	v_lshlrev_b32_e32 v12, 2, v12
	ds_bpermute_b32 v13, v12, v13
	s_waitcnt lgkmcnt(0)
	v_cmp_ne_u32_e32 vcc, 0, v13
	s_and_b64 s[4:5], vcc, s[4:5]
	v_cmp_lt_i32_e32 vcc, v9, v6
	v_cndmask_b32_e64 v14, 0, 1, s[4:5]
	s_nop 0
	v_cndmask_b32_e32 v13, v5, v9, vcc
	v_lshlrev_b32_e32 v13, 2, v13
	ds_bpermute_b32 v14, v13, v14
	s_waitcnt lgkmcnt(0)
	v_cmp_ne_u32_e32 vcc, 0, v14
	;; [unrolled: 9-line block ×3, first 2 shown]
	s_and_b64 s[4:5], vcc, s[4:5]
	v_cmp_lt_i32_e32 vcc, v11, v6
	v_cndmask_b32_e64 v16, 0, 1, s[4:5]
	s_nop 0
	v_cndmask_b32_e32 v15, v5, v11, vcc
	v_lshlrev_b32_e32 v15, 2, v15
	ds_bpermute_b32 v16, v15, v16
	s_and_saveexec_b64 s[14:15], s[0:1]
	s_cbranch_execz .LBB10_3
; %bb.11:                               ;   in Loop: Header=BB10_5 Depth=1
	s_waitcnt lgkmcnt(0)
	v_cmp_ne_u32_e32 vcc, 0, v16
	s_and_b64 s[4:5], vcc, s[4:5]
	v_cndmask_b32_e64 v16, 0, 1, s[4:5]
	ds_write_b32 v1, v16
	s_branch .LBB10_3
.LBB10_12:
	s_or_b64 exec, exec, s[12:13]
	v_cmp_eq_u32_e32 vcc, 0, v0
	s_and_saveexec_b64 s[0:1], vcc
	s_cbranch_execz .LBB10_14
; %bb.13:
	s_mul_i32 s0, s16, s3
	s_add_i32 s0, s0, s2
	s_ashr_i32 s1, s0, 31
	s_lshl_b64 s[0:1], s[0:1], 2
	s_add_u32 s0, s6, s0
	s_addc_u32 s1, s7, s1
	v_mov_b32_e32 v0, 0
	global_store_dword v0, v2, s[0:1]
.LBB10_14:
	s_endpgm
	.section	.rodata,"a",@progbits
	.p2align	6, 0x0
	.amdhsa_kernel _ZL25flash_attn_mask_to_KV_maxILi2EEvPK7__half2Piiii
		.amdhsa_group_segment_fixed_size 128
		.amdhsa_private_segment_fixed_size 0
		.amdhsa_kernarg_size 288
		.amdhsa_user_sgpr_count 2
		.amdhsa_user_sgpr_dispatch_ptr 0
		.amdhsa_user_sgpr_queue_ptr 0
		.amdhsa_user_sgpr_kernarg_segment_ptr 1
		.amdhsa_user_sgpr_dispatch_id 0
		.amdhsa_user_sgpr_kernarg_preload_length 0
		.amdhsa_user_sgpr_kernarg_preload_offset 0
		.amdhsa_user_sgpr_private_segment_size 0
		.amdhsa_uses_dynamic_stack 0
		.amdhsa_enable_private_segment 0
		.amdhsa_system_sgpr_workgroup_id_x 1
		.amdhsa_system_sgpr_workgroup_id_y 1
		.amdhsa_system_sgpr_workgroup_id_z 0
		.amdhsa_system_sgpr_workgroup_info 0
		.amdhsa_system_vgpr_workitem_id 0
		.amdhsa_next_free_vgpr 17
		.amdhsa_next_free_sgpr 22
		.amdhsa_accum_offset 20
		.amdhsa_reserve_vcc 1
		.amdhsa_float_round_mode_32 0
		.amdhsa_float_round_mode_16_64 0
		.amdhsa_float_denorm_mode_32 3
		.amdhsa_float_denorm_mode_16_64 3
		.amdhsa_dx10_clamp 1
		.amdhsa_ieee_mode 1
		.amdhsa_fp16_overflow 0
		.amdhsa_tg_split 0
		.amdhsa_exception_fp_ieee_invalid_op 0
		.amdhsa_exception_fp_denorm_src 0
		.amdhsa_exception_fp_ieee_div_zero 0
		.amdhsa_exception_fp_ieee_overflow 0
		.amdhsa_exception_fp_ieee_underflow 0
		.amdhsa_exception_fp_ieee_inexact 0
		.amdhsa_exception_int_div_zero 0
	.end_amdhsa_kernel
	.section	.text._ZL25flash_attn_mask_to_KV_maxILi2EEvPK7__half2Piiii,"axG",@progbits,_ZL25flash_attn_mask_to_KV_maxILi2EEvPK7__half2Piiii,comdat
.Lfunc_end10:
	.size	_ZL25flash_attn_mask_to_KV_maxILi2EEvPK7__half2Piiii, .Lfunc_end10-_ZL25flash_attn_mask_to_KV_maxILi2EEvPK7__half2Piiii
                                        ; -- End function
	.set _ZL25flash_attn_mask_to_KV_maxILi2EEvPK7__half2Piiii.num_vgpr, 17
	.set _ZL25flash_attn_mask_to_KV_maxILi2EEvPK7__half2Piiii.num_agpr, 0
	.set _ZL25flash_attn_mask_to_KV_maxILi2EEvPK7__half2Piiii.numbered_sgpr, 22
	.set _ZL25flash_attn_mask_to_KV_maxILi2EEvPK7__half2Piiii.num_named_barrier, 0
	.set _ZL25flash_attn_mask_to_KV_maxILi2EEvPK7__half2Piiii.private_seg_size, 0
	.set _ZL25flash_attn_mask_to_KV_maxILi2EEvPK7__half2Piiii.uses_vcc, 1
	.set _ZL25flash_attn_mask_to_KV_maxILi2EEvPK7__half2Piiii.uses_flat_scratch, 0
	.set _ZL25flash_attn_mask_to_KV_maxILi2EEvPK7__half2Piiii.has_dyn_sized_stack, 0
	.set _ZL25flash_attn_mask_to_KV_maxILi2EEvPK7__half2Piiii.has_recursion, 0
	.set _ZL25flash_attn_mask_to_KV_maxILi2EEvPK7__half2Piiii.has_indirect_call, 0
	.section	.AMDGPU.csdata,"",@progbits
; Kernel info:
; codeLenInByte = 836
; TotalNumSgprs: 28
; NumVgprs: 17
; NumAgprs: 0
; TotalNumVgprs: 17
; ScratchSize: 0
; MemoryBound: 0
; FloatMode: 240
; IeeeMode: 1
; LDSByteSize: 128 bytes/workgroup (compile time only)
; SGPRBlocks: 3
; VGPRBlocks: 2
; NumSGPRsForWavesPerEU: 28
; NumVGPRsForWavesPerEU: 17
; AccumOffset: 20
; Occupancy: 8
; WaveLimiterHint : 0
; COMPUTE_PGM_RSRC2:SCRATCH_EN: 0
; COMPUTE_PGM_RSRC2:USER_SGPR: 2
; COMPUTE_PGM_RSRC2:TRAP_HANDLER: 0
; COMPUTE_PGM_RSRC2:TGID_X_EN: 1
; COMPUTE_PGM_RSRC2:TGID_Y_EN: 1
; COMPUTE_PGM_RSRC2:TGID_Z_EN: 0
; COMPUTE_PGM_RSRC2:TIDIG_COMP_CNT: 0
; COMPUTE_PGM_RSRC3_GFX90A:ACCUM_OFFSET: 4
; COMPUTE_PGM_RSRC3_GFX90A:TG_SPLIT: 0
	.section	.text._ZL33flash_attn_stream_k_fixup_uniformILi64ELi2ELi1EEvPfPK15HIP_vector_typeIfLj2EEiiiiiiS1_IjLj3EES5_S5_,"axG",@progbits,_ZL33flash_attn_stream_k_fixup_uniformILi64ELi2ELi1EEvPfPK15HIP_vector_typeIfLj2EEiiiiiiS1_IjLj3EES5_S5_,comdat
	.globl	_ZL33flash_attn_stream_k_fixup_uniformILi64ELi2ELi1EEvPfPK15HIP_vector_typeIfLj2EEiiiiiiS1_IjLj3EES5_S5_ ; -- Begin function _ZL33flash_attn_stream_k_fixup_uniformILi64ELi2ELi1EEvPfPK15HIP_vector_typeIfLj2EEiiiiiiS1_IjLj3EES5_S5_
	.p2align	8
	.type	_ZL33flash_attn_stream_k_fixup_uniformILi64ELi2ELi1EEvPfPK15HIP_vector_typeIfLj2EEiiiiiiS1_IjLj3EES5_S5_,@function
_ZL33flash_attn_stream_k_fixup_uniformILi64ELi2ELi1EEvPfPK15HIP_vector_typeIfLj2EEiiiiiiS1_IjLj3EES5_S5_: ; @_ZL33flash_attn_stream_k_fixup_uniformILi64ELi2ELi1EEvPfPK15HIP_vector_typeIfLj2EEiiiiiiS1_IjLj3EES5_S5_
; %bb.0:
	s_load_dwordx8 s[8:15], s[0:1], 0x1c
	s_load_dwordx2 s[6:7], s[0:1], 0x10
	s_load_dwordx4 s[20:23], s[0:1], 0x3c
	s_waitcnt lgkmcnt(0)
	s_mul_hi_u32 s5, s11, s2
	s_add_i32 s5, s2, s5
	s_lshr_b32 s5, s5, s12
	s_mul_i32 s11, s5, s13
	s_sub_i32 s11, s2, s11
	s_mul_hi_u32 s12, s11, s14
	s_add_i32 s12, s11, s12
	s_lshr_b32 s16, s12, s15
	s_mul_i32 s12, s16, s20
	s_sub_i32 s12, s11, s12
	;; [unrolled: 5-line block ×3, first 2 shown]
	s_lshl_b32 s12, s17, 1
	s_add_i32 s12, s12, s3
	s_cmp_lt_i32 s12, s6
	s_cselect_b64 s[12:13], -1, 0
	s_add_i32 s14, s11, s4
	s_cmp_lt_i32 s14, s9
	s_cselect_b64 s[14:15], -1, 0
	s_and_b64 s[12:13], s[12:13], s[14:15]
	s_andn2_b64 vcc, exec, s[12:13]
	s_cbranch_vccnz .LBB11_6
; %bb.1:
	s_load_dwordx4 s[12:15], s[0:1], 0x0
	s_mul_i32 s0, s5, s6
	s_add_i32 s0, s0, s3
	s_mul_i32 s0, s0, s7
	s_mul_i32 s16, s16, s9
	s_add_i32 s0, s0, s4
	s_add_i32 s0, s0, s16
	s_mul_i32 s1, s7, s17
	s_add_i32 s0, s0, s11
	s_lshl_b32 s1, s1, 7
	s_lshl_b32 s0, s0, 6
	s_add_i32 s1, s1, s0
	v_or_b32_e32 v4, s1, v0
	s_waitcnt lgkmcnt(0)
	v_mov_b32_e32 v2, s12
	v_mov_b32_e32 v3, s13
	v_ashrrev_i32_e32 v5, 31, v4
	v_lshl_add_u64 v[2:3], v[4:5], 2, v[2:3]
	global_load_dword v5, v[2:3], off
	s_mul_i32 s6, s10, s2
	s_add_i32 s7, s6, s10
	s_add_i32 s3, s3, s4
	s_lshl_b32 s0, s7, 1
	s_add_i32 s0, s3, s0
	s_add_i32 s0, s0, -2
	s_ashr_i32 s1, s0, 31
	s_lshl_b64 s[0:1], s[0:1], 3
	s_add_u32 s0, s14, s0
	s_addc_u32 s1, s15, s1
	s_load_dword s9, s[0:1], 0x4
	s_add_i32 s4, s7, -2
	s_cmp_lt_i32 s4, s6
	s_cbranch_scc1 .LBB11_4
; %bb.2:
	s_lshl_b32 s4, s8, 3
	s_ashr_i32 s5, s4, 31
	s_lshl_b64 s[4:5], s[4:5], 2
	s_add_u32 s4, s14, s4
	s_addc_u32 s5, s15, s5
	s_add_i32 s2, s2, 1
	s_mul_i32 s2, s10, s2
	s_load_dword s0, s[0:1], 0x0
	s_lshl_b32 s1, s3, 6
	s_lshl_b32 s10, s2, 7
	s_add_i32 s1, s1, s10
	v_or_b32_e32 v0, s1, v0
	s_lshl_b32 s1, s2, 1
	s_add_i32 s1, s3, s1
	s_lshl_b32 s2, s8, 1
	s_add_i32 s1, s1, s2
	s_add_i32 s7, s7, -1
	v_add_u32_e32 v0, 0xffffff00, v0
	s_add_i32 s2, s1, -4
	s_waitcnt lgkmcnt(0)
	v_mov_b32_e32 v7, s0
	v_mov_b32_e32 v4, s9
	s_mov_b32 s8, 0x3fb8aa3b
	s_mov_b32 s9, 0xc2ce8ed0
	;; [unrolled: 1-line block ×3, first 2 shown]
	v_mov_b32_e32 v6, 0x7f800000
	s_mov_b32 s11, 0xc1a00000
.LBB11_3:                               ; =>This Inner Loop Header: Depth=1
	v_ashrrev_i32_e32 v1, 31, v0
	v_lshl_add_u64 v[8:9], v[0:1], 2, s[4:5]
	global_load_dword v9, v[8:9], off
	s_ashr_i32 s3, s2, 31
	s_lshl_b64 s[0:1], s[2:3], 3
	s_add_u32 s0, s14, s0
	s_addc_u32 s1, s15, s1
	s_load_dwordx2 s[0:1], s[0:1], 0x0
	v_max_f32_e32 v1, v7, v7
	s_add_i32 s7, s7, -1
	s_add_i32 s2, s2, -2
	v_add_u32_e32 v0, 0xffffff80, v0
	s_waitcnt lgkmcnt(0)
	v_max_f32_e64 v10, s0, s0
	v_max_f32_e32 v1, v1, v10
	v_sub_f32_e32 v11, s0, v1
	v_sub_f32_e32 v10, v7, v1
	v_mul_f32_e32 v12, 0x3fb8aa3b, v11
	v_mov_b32_e32 v7, v1
	v_mul_f32_e32 v1, 0x3fb8aa3b, v10
	v_fma_f32 v15, v11, s8, -v12
	v_rndne_f32_e32 v16, v12
	v_fma_f32 v13, v10, s8, -v1
	v_rndne_f32_e32 v14, v1
	v_fmac_f32_e32 v15, 0x32a5705f, v11
	v_sub_f32_e32 v12, v12, v16
	v_fmac_f32_e32 v13, 0x32a5705f, v10
	v_sub_f32_e32 v1, v1, v14
	v_add_f32_e32 v12, v12, v15
	v_cvt_i32_f32_e32 v16, v16
	v_add_f32_e32 v1, v1, v13
	v_exp_f32_e32 v12, v12
	v_cvt_i32_f32_e32 v14, v14
	v_exp_f32_e32 v1, v1
	v_cmp_ngt_f32_e32 vcc, s9, v11
	v_ldexp_f32 v12, v12, v16
	v_mov_b32_e32 v8, s1
	v_ldexp_f32 v1, v1, v14
	v_cmp_ngt_f32_e64 s[0:1], s9, v10
	v_cndmask_b32_e32 v12, 0, v12, vcc
	v_cmp_nlt_f32_e32 vcc, s10, v11
	v_cndmask_b32_e64 v1, 0, v1, s[0:1]
	v_cmp_nlt_f32_e64 s[0:1], s10, v10
	v_cndmask_b32_e32 v12, v6, v12, vcc
	v_cmp_le_f32_e32 vcc, s11, v11
	v_cndmask_b32_e64 v1, v6, v1, s[0:1]
	v_cmp_le_f32_e64 s[0:1], s11, v10
	v_cndmask_b32_e32 v12, 0, v12, vcc
	s_cmp_le_i32 s7, s6
	v_cndmask_b32_e64 v10, 0, v1, s[0:1]
	s_waitcnt vmcnt(0)
	v_pk_mul_f32 v[8:9], v[8:9], v[12:13] op_sel_hi:[1,0]
	s_nop 0
	v_pk_fma_f32 v[4:5], v[4:5], v[10:11], v[8:9] op_sel_hi:[1,0,1]
	s_cbranch_scc0 .LBB11_3
	s_branch .LBB11_5
.LBB11_4:
	s_waitcnt lgkmcnt(0)
	v_mov_b32_e32 v4, s9
.LBB11_5:
	s_waitcnt vmcnt(0)
	v_div_scale_f32 v0, s[0:1], v4, v4, v5
	v_rcp_f32_e32 v1, v0
	v_div_scale_f32 v6, vcc, v5, v4, v5
	v_fma_f32 v7, -v0, v1, 1.0
	v_fmac_f32_e32 v1, v7, v1
	v_mul_f32_e32 v7, v6, v1
	v_fma_f32 v8, -v0, v7, v6
	v_fmac_f32_e32 v7, v8, v1
	v_fma_f32 v0, -v0, v7, v6
	v_div_fmas_f32 v0, v0, v1, v7
	v_div_fixup_f32 v0, v0, v4, v5
	global_store_dword v[2:3], v0, off
.LBB11_6:
	s_endpgm
	.section	.rodata,"a",@progbits
	.p2align	6, 0x0
	.amdhsa_kernel _ZL33flash_attn_stream_k_fixup_uniformILi64ELi2ELi1EEvPfPK15HIP_vector_typeIfLj2EEiiiiiiS1_IjLj3EES5_S5_
		.amdhsa_group_segment_fixed_size 0
		.amdhsa_private_segment_fixed_size 0
		.amdhsa_kernarg_size 76
		.amdhsa_user_sgpr_count 2
		.amdhsa_user_sgpr_dispatch_ptr 0
		.amdhsa_user_sgpr_queue_ptr 0
		.amdhsa_user_sgpr_kernarg_segment_ptr 1
		.amdhsa_user_sgpr_dispatch_id 0
		.amdhsa_user_sgpr_kernarg_preload_length 0
		.amdhsa_user_sgpr_kernarg_preload_offset 0
		.amdhsa_user_sgpr_private_segment_size 0
		.amdhsa_uses_dynamic_stack 0
		.amdhsa_enable_private_segment 0
		.amdhsa_system_sgpr_workgroup_id_x 1
		.amdhsa_system_sgpr_workgroup_id_y 1
		.amdhsa_system_sgpr_workgroup_id_z 1
		.amdhsa_system_sgpr_workgroup_info 0
		.amdhsa_system_vgpr_workitem_id 0
		.amdhsa_next_free_vgpr 17
		.amdhsa_next_free_sgpr 24
		.amdhsa_accum_offset 20
		.amdhsa_reserve_vcc 1
		.amdhsa_float_round_mode_32 0
		.amdhsa_float_round_mode_16_64 0
		.amdhsa_float_denorm_mode_32 3
		.amdhsa_float_denorm_mode_16_64 3
		.amdhsa_dx10_clamp 1
		.amdhsa_ieee_mode 1
		.amdhsa_fp16_overflow 0
		.amdhsa_tg_split 0
		.amdhsa_exception_fp_ieee_invalid_op 0
		.amdhsa_exception_fp_denorm_src 0
		.amdhsa_exception_fp_ieee_div_zero 0
		.amdhsa_exception_fp_ieee_overflow 0
		.amdhsa_exception_fp_ieee_underflow 0
		.amdhsa_exception_fp_ieee_inexact 0
		.amdhsa_exception_int_div_zero 0
	.end_amdhsa_kernel
	.section	.text._ZL33flash_attn_stream_k_fixup_uniformILi64ELi2ELi1EEvPfPK15HIP_vector_typeIfLj2EEiiiiiiS1_IjLj3EES5_S5_,"axG",@progbits,_ZL33flash_attn_stream_k_fixup_uniformILi64ELi2ELi1EEvPfPK15HIP_vector_typeIfLj2EEiiiiiiS1_IjLj3EES5_S5_,comdat
.Lfunc_end11:
	.size	_ZL33flash_attn_stream_k_fixup_uniformILi64ELi2ELi1EEvPfPK15HIP_vector_typeIfLj2EEiiiiiiS1_IjLj3EES5_S5_, .Lfunc_end11-_ZL33flash_attn_stream_k_fixup_uniformILi64ELi2ELi1EEvPfPK15HIP_vector_typeIfLj2EEiiiiiiS1_IjLj3EES5_S5_
                                        ; -- End function
	.set _ZL33flash_attn_stream_k_fixup_uniformILi64ELi2ELi1EEvPfPK15HIP_vector_typeIfLj2EEiiiiiiS1_IjLj3EES5_S5_.num_vgpr, 17
	.set _ZL33flash_attn_stream_k_fixup_uniformILi64ELi2ELi1EEvPfPK15HIP_vector_typeIfLj2EEiiiiiiS1_IjLj3EES5_S5_.num_agpr, 0
	.set _ZL33flash_attn_stream_k_fixup_uniformILi64ELi2ELi1EEvPfPK15HIP_vector_typeIfLj2EEiiiiiiS1_IjLj3EES5_S5_.numbered_sgpr, 24
	.set _ZL33flash_attn_stream_k_fixup_uniformILi64ELi2ELi1EEvPfPK15HIP_vector_typeIfLj2EEiiiiiiS1_IjLj3EES5_S5_.num_named_barrier, 0
	.set _ZL33flash_attn_stream_k_fixup_uniformILi64ELi2ELi1EEvPfPK15HIP_vector_typeIfLj2EEiiiiiiS1_IjLj3EES5_S5_.private_seg_size, 0
	.set _ZL33flash_attn_stream_k_fixup_uniformILi64ELi2ELi1EEvPfPK15HIP_vector_typeIfLj2EEiiiiiiS1_IjLj3EES5_S5_.uses_vcc, 1
	.set _ZL33flash_attn_stream_k_fixup_uniformILi64ELi2ELi1EEvPfPK15HIP_vector_typeIfLj2EEiiiiiiS1_IjLj3EES5_S5_.uses_flat_scratch, 0
	.set _ZL33flash_attn_stream_k_fixup_uniformILi64ELi2ELi1EEvPfPK15HIP_vector_typeIfLj2EEiiiiiiS1_IjLj3EES5_S5_.has_dyn_sized_stack, 0
	.set _ZL33flash_attn_stream_k_fixup_uniformILi64ELi2ELi1EEvPfPK15HIP_vector_typeIfLj2EEiiiiiiS1_IjLj3EES5_S5_.has_recursion, 0
	.set _ZL33flash_attn_stream_k_fixup_uniformILi64ELi2ELi1EEvPfPK15HIP_vector_typeIfLj2EEiiiiiiS1_IjLj3EES5_S5_.has_indirect_call, 0
	.section	.AMDGPU.csdata,"",@progbits
; Kernel info:
; codeLenInByte = 816
; TotalNumSgprs: 30
; NumVgprs: 17
; NumAgprs: 0
; TotalNumVgprs: 17
; ScratchSize: 0
; MemoryBound: 0
; FloatMode: 240
; IeeeMode: 1
; LDSByteSize: 0 bytes/workgroup (compile time only)
; SGPRBlocks: 3
; VGPRBlocks: 2
; NumSGPRsForWavesPerEU: 30
; NumVGPRsForWavesPerEU: 17
; AccumOffset: 20
; Occupancy: 8
; WaveLimiterHint : 0
; COMPUTE_PGM_RSRC2:SCRATCH_EN: 0
; COMPUTE_PGM_RSRC2:USER_SGPR: 2
; COMPUTE_PGM_RSRC2:TRAP_HANDLER: 0
; COMPUTE_PGM_RSRC2:TGID_X_EN: 1
; COMPUTE_PGM_RSRC2:TGID_Y_EN: 1
; COMPUTE_PGM_RSRC2:TGID_Z_EN: 1
; COMPUTE_PGM_RSRC2:TIDIG_COMP_CNT: 0
; COMPUTE_PGM_RSRC3_GFX90A:ACCUM_OFFSET: 4
; COMPUTE_PGM_RSRC3_GFX90A:TG_SPLIT: 0
	.section	.text._ZL33flash_attn_stream_k_fixup_generalILi64ELi2ELi1EEvPfPK15HIP_vector_typeIfLj2EEiiiiS1_IjLj3EES5_S5_S5_,"axG",@progbits,_ZL33flash_attn_stream_k_fixup_generalILi64ELi2ELi1EEvPfPK15HIP_vector_typeIfLj2EEiiiiS1_IjLj3EES5_S5_S5_,comdat
	.globl	_ZL33flash_attn_stream_k_fixup_generalILi64ELi2ELi1EEvPfPK15HIP_vector_typeIfLj2EEiiiiS1_IjLj3EES5_S5_S5_ ; -- Begin function _ZL33flash_attn_stream_k_fixup_generalILi64ELi2ELi1EEvPfPK15HIP_vector_typeIfLj2EEiiiiS1_IjLj3EES5_S5_S5_
	.p2align	8
	.type	_ZL33flash_attn_stream_k_fixup_generalILi64ELi2ELi1EEvPfPK15HIP_vector_typeIfLj2EEiiiiS1_IjLj3EES5_S5_S5_,@function
_ZL33flash_attn_stream_k_fixup_generalILi64ELi2ELi1EEvPfPK15HIP_vector_typeIfLj2EEiiiiS1_IjLj3EES5_S5_S5_: ; @_ZL33flash_attn_stream_k_fixup_generalILi64ELi2ELi1EEvPfPK15HIP_vector_typeIfLj2EEiiiiS1_IjLj3EES5_S5_S5_
; %bb.0:
	s_load_dwordx4 s[8:11], s[0:1], 0x10
	s_load_dword s22, s[0:1], 0x50
	s_mov_b32 s12, 0
	s_waitcnt lgkmcnt(0)
	s_mul_hi_i32 s13, s11, s2
	s_cmp_lg_u64 s[12:13], 0
	s_mul_i32 s5, s11, s2
	s_cbranch_scc0 .LBB12_20
; %bb.1:
	s_add_u32 s6, s22, 0
	s_addc_u32 s7, 0, 0
	s_xor_b64 s[6:7], s[6:7], 0
	v_cvt_f32_u32_e32 v1, s6
	v_cvt_f32_u32_e32 v2, s7
	s_sub_u32 s12, 0, s6
	s_subb_u32 s18, 0, s7
	v_fmamk_f32 v1, v2, 0x4f800000, v1
	v_rcp_f32_e32 v1, v1
	s_nop 0
	v_mul_f32_e32 v1, 0x5f7ffffc, v1
	v_mul_f32_e32 v2, 0x2f800000, v1
	v_trunc_f32_e32 v2, v2
	v_fmamk_f32 v1, v2, 0xcf800000, v1
	v_cvt_u32_f32_e32 v2, v2
	v_cvt_u32_f32_e32 v1, v1
	v_readfirstlane_b32 s19, v2
	v_readfirstlane_b32 s14, v1
	s_mul_i32 s15, s12, s19
	s_mul_hi_u32 s21, s12, s14
	s_mul_i32 s20, s18, s14
	s_add_i32 s15, s21, s15
	s_add_i32 s15, s15, s20
	s_mul_i32 s23, s12, s14
	s_mul_i32 s21, s14, s15
	s_mul_hi_u32 s24, s14, s23
	s_mul_hi_u32 s20, s14, s15
	s_add_u32 s21, s24, s21
	s_addc_u32 s20, 0, s20
	s_mul_hi_u32 s25, s19, s23
	s_mul_i32 s23, s19, s23
	s_add_u32 s21, s21, s23
	s_mul_hi_u32 s24, s19, s15
	s_addc_u32 s20, s20, s25
	s_addc_u32 s21, s24, 0
	s_mul_i32 s15, s19, s15
	s_add_u32 s15, s20, s15
	s_addc_u32 s20, 0, s21
	s_add_u32 s21, s14, s15
	s_cselect_b64 s[14:15], -1, 0
	s_cmp_lg_u64 s[14:15], 0
	s_addc_u32 s19, s19, s20
	s_mul_i32 s14, s12, s19
	s_mul_hi_u32 s15, s12, s21
	s_add_i32 s14, s15, s14
	s_mul_i32 s18, s18, s21
	s_add_i32 s14, s14, s18
	s_mul_i32 s12, s12, s21
	s_mul_hi_u32 s18, s19, s12
	s_mul_i32 s20, s19, s12
	s_mul_i32 s24, s21, s14
	s_mul_hi_u32 s12, s21, s12
	s_mul_hi_u32 s23, s21, s14
	s_add_u32 s12, s12, s24
	s_addc_u32 s23, 0, s23
	s_add_u32 s12, s12, s20
	s_mul_hi_u32 s15, s19, s14
	s_addc_u32 s12, s23, s18
	s_addc_u32 s15, s15, 0
	s_mul_i32 s14, s19, s14
	s_add_u32 s12, s12, s14
	s_addc_u32 s18, 0, s15
	s_add_u32 s20, s21, s12
	s_cselect_b64 s[14:15], -1, 0
	s_cmp_lg_u64 s[14:15], 0
	s_addc_u32 s18, s19, s18
	s_ashr_i32 s14, s13, 31
	s_add_u32 s12, s5, s14
	s_mov_b32 s15, s14
	s_addc_u32 s13, s13, s14
	s_xor_b64 s[12:13], s[12:13], s[14:15]
	s_mul_i32 s21, s12, s18
	s_mul_hi_u32 s23, s12, s20
	s_mul_hi_u32 s19, s12, s18
	s_add_u32 s21, s23, s21
	s_addc_u32 s19, 0, s19
	s_mul_hi_u32 s24, s13, s20
	s_mul_i32 s20, s13, s20
	s_add_u32 s20, s21, s20
	s_mul_hi_u32 s23, s13, s18
	s_addc_u32 s19, s19, s24
	s_addc_u32 s20, s23, 0
	s_mul_i32 s18, s13, s18
	s_add_u32 s23, s19, s18
	s_addc_u32 s24, 0, s20
	s_mul_i32 s18, s6, s24
	s_mul_hi_u32 s19, s6, s23
	s_add_i32 s18, s19, s18
	s_mul_i32 s19, s7, s23
	s_add_i32 s25, s18, s19
	s_sub_i32 s20, s13, s25
	s_mul_i32 s18, s6, s23
	s_sub_u32 s12, s12, s18
	s_cselect_b64 s[18:19], -1, 0
	s_cmp_lg_u64 s[18:19], 0
	s_subb_u32 s26, s20, s7
	s_sub_u32 s27, s12, s6
	s_cselect_b64 s[20:21], -1, 0
	s_cmp_lg_u64 s[20:21], 0
	s_subb_u32 s20, s26, 0
	s_cmp_ge_u32 s20, s7
	s_cselect_b32 s21, -1, 0
	s_cmp_ge_u32 s27, s6
	s_cselect_b32 s26, -1, 0
	s_cmp_eq_u32 s20, s7
	s_cselect_b32 s20, s26, s21
	s_add_u32 s21, s23, 1
	s_addc_u32 s26, s24, 0
	s_add_u32 s27, s23, 2
	s_addc_u32 s28, s24, 0
	s_cmp_lg_u32 s20, 0
	s_cselect_b32 s20, s27, s21
	s_cselect_b32 s21, s28, s26
	s_cmp_lg_u64 s[18:19], 0
	s_subb_u32 s13, s13, s25
	s_cmp_ge_u32 s13, s7
	s_cselect_b32 s18, -1, 0
	s_cmp_ge_u32 s12, s6
	s_cselect_b32 s6, -1, 0
	s_cmp_eq_u32 s13, s7
	s_cselect_b32 s6, s6, s18
	s_cmp_lg_u32 s6, 0
	s_cselect_b32 s7, s21, s24
	s_cselect_b32 s6, s20, s23
	s_xor_b64 s[12:13], s[14:15], 0
	s_xor_b64 s[6:7], s[6:7], s[12:13]
	s_sub_u32 s6, s6, s12
	s_load_dwordx4 s[12:15], s[0:1], 0x44
	s_cbranch_execnz .LBB12_3
.LBB12_2:
	v_cvt_f32_u32_e32 v1, s22
	s_sub_i32 s6, 0, s22
	v_rcp_iflag_f32_e32 v1, v1
	s_nop 0
	v_mul_f32_e32 v1, 0x4f7ffffe, v1
	v_cvt_u32_f32_e32 v1, v1
	s_nop 0
	v_readfirstlane_b32 s7, v1
	s_mul_i32 s6, s6, s7
	s_mul_hi_u32 s6, s7, s6
	s_add_i32 s7, s7, s6
	s_mul_hi_u32 s6, s5, s7
	s_waitcnt lgkmcnt(0)
	s_mul_i32 s15, s6, s22
	s_sub_i32 s5, s5, s15
	s_add_i32 s7, s6, 1
	s_sub_i32 s15, s5, s22
	s_cmp_ge_u32 s5, s22
	s_cselect_b32 s6, s7, s6
	s_cselect_b32 s5, s15, s5
	s_add_i32 s7, s6, 1
	s_cmp_ge_u32 s5, s22
	s_cselect_b32 s6, s7, s6
.LBB12_3:
	s_add_i32 s5, s2, 1
	s_mul_hi_i32 s21, s11, s5
	s_mov_b32 s20, 0
	s_cmp_lg_u64 s[20:21], 0
	s_mul_i32 s5, s11, s5
	s_cbranch_scc0 .LBB12_21
; %bb.4:
	s_add_u32 s16, s22, 0
	s_addc_u32 s17, 0, 0
	s_xor_b64 s[18:19], s[16:17], 0
	v_cvt_f32_u32_e32 v1, s18
	v_cvt_f32_u32_e32 v2, s19
	s_sub_u32 s7, 0, s18
	s_waitcnt lgkmcnt(0)
	s_subb_u32 s15, 0, s19
	v_fmamk_f32 v1, v2, 0x4f800000, v1
	v_rcp_f32_e32 v1, v1
	s_nop 0
	v_mul_f32_e32 v1, 0x5f7ffffc, v1
	v_mul_f32_e32 v2, 0x2f800000, v1
	v_trunc_f32_e32 v2, v2
	v_fmamk_f32 v1, v2, 0xcf800000, v1
	v_cvt_u32_f32_e32 v2, v2
	v_cvt_u32_f32_e32 v1, v1
	v_readfirstlane_b32 s20, v2
	v_readfirstlane_b32 s23, v1
	s_mul_i32 s24, s7, s20
	s_mul_hi_u32 s26, s7, s23
	s_mul_i32 s25, s15, s23
	s_add_i32 s24, s26, s24
	s_add_i32 s24, s24, s25
	s_mul_i32 s27, s7, s23
	s_mul_i32 s26, s23, s24
	s_mul_hi_u32 s28, s23, s27
	s_mul_hi_u32 s25, s23, s24
	s_add_u32 s26, s28, s26
	s_addc_u32 s25, 0, s25
	s_mul_hi_u32 s29, s20, s27
	s_mul_i32 s27, s20, s27
	s_add_u32 s26, s26, s27
	s_mul_hi_u32 s28, s20, s24
	s_addc_u32 s25, s25, s29
	s_addc_u32 s26, s28, 0
	s_mul_i32 s24, s20, s24
	s_add_u32 s24, s25, s24
	s_addc_u32 s26, 0, s26
	s_add_u32 s23, s23, s24
	s_cselect_b64 s[24:25], -1, 0
	s_cmp_lg_u64 s[24:25], 0
	s_addc_u32 s20, s20, s26
	s_mul_i32 s24, s7, s20
	s_mul_hi_u32 s25, s7, s23
	s_add_i32 s24, s25, s24
	s_mul_i32 s15, s15, s23
	s_add_i32 s24, s24, s15
	s_mul_i32 s7, s7, s23
	s_mul_hi_u32 s25, s20, s7
	s_mul_i32 s26, s20, s7
	s_mul_i32 s28, s23, s24
	s_mul_hi_u32 s7, s23, s7
	s_mul_hi_u32 s27, s23, s24
	s_add_u32 s7, s7, s28
	s_addc_u32 s27, 0, s27
	s_add_u32 s7, s7, s26
	s_mul_hi_u32 s15, s20, s24
	s_addc_u32 s7, s27, s25
	s_addc_u32 s15, s15, 0
	s_mul_i32 s24, s20, s24
	s_add_u32 s7, s7, s24
	s_addc_u32 s15, 0, s15
	s_add_u32 s7, s23, s7
	s_cselect_b64 s[24:25], -1, 0
	s_cmp_lg_u64 s[24:25], 0
	s_addc_u32 s15, s20, s15
	s_ashr_i32 s24, s21, 31
	s_add_u32 s20, s5, s24
	s_mov_b32 s25, s24
	s_addc_u32 s21, s21, s24
	s_xor_b64 s[20:21], s[20:21], s[24:25]
	s_mul_i32 s26, s20, s15
	s_mul_hi_u32 s27, s20, s7
	s_mul_hi_u32 s23, s20, s15
	s_add_u32 s26, s27, s26
	s_addc_u32 s23, 0, s23
	s_mul_hi_u32 s28, s21, s7
	s_mul_i32 s7, s21, s7
	s_add_u32 s7, s26, s7
	s_mul_hi_u32 s27, s21, s15
	s_addc_u32 s7, s23, s28
	s_addc_u32 s23, s27, 0
	s_mul_i32 s15, s21, s15
	s_add_u32 s7, s7, s15
	s_addc_u32 s15, 0, s23
	s_mul_i32 s23, s18, s15
	s_mul_hi_u32 s26, s18, s7
	s_add_i32 s23, s26, s23
	s_mul_i32 s26, s19, s7
	s_add_i32 s23, s23, s26
	s_sub_i32 s28, s21, s23
	s_mul_i32 s26, s18, s7
	s_sub_u32 s20, s20, s26
	s_cselect_b64 s[26:27], -1, 0
	s_cmp_lg_u64 s[26:27], 0
	s_subb_u32 s30, s28, s19
	s_sub_u32 s31, s20, s18
	s_cselect_b64 s[28:29], -1, 0
	s_cmp_lg_u64 s[28:29], 0
	s_subb_u32 s28, s30, 0
	s_cmp_ge_u32 s28, s19
	s_cselect_b32 s29, -1, 0
	s_cmp_ge_u32 s31, s18
	s_cselect_b32 s30, -1, 0
	s_cmp_eq_u32 s28, s19
	s_cselect_b32 s28, s30, s29
	s_add_u32 s29, s7, 1
	s_addc_u32 s30, s15, 0
	s_add_u32 s31, s7, 2
	s_addc_u32 s33, s15, 0
	s_cmp_lg_u32 s28, 0
	s_cselect_b32 s28, s31, s29
	s_cselect_b32 s29, s33, s30
	s_cmp_lg_u64 s[26:27], 0
	s_subb_u32 s21, s21, s23
	s_cmp_ge_u32 s21, s19
	s_cselect_b32 s23, -1, 0
	s_cmp_ge_u32 s20, s18
	s_cselect_b32 s18, -1, 0
	s_cmp_eq_u32 s21, s19
	s_cselect_b32 s18, s18, s23
	s_cmp_lg_u32 s18, 0
	s_cselect_b32 s19, s29, s15
	s_cselect_b32 s18, s28, s7
	s_xor_b64 s[20:21], s[24:25], 0
	s_xor_b64 s[18:19], s[18:19], s[20:21]
	s_sub_u32 s18, s18, s20
	s_cbranch_execnz .LBB12_6
.LBB12_5:
	v_cvt_f32_u32_e32 v1, s22
	s_sub_i32 s7, 0, s22
	v_rcp_iflag_f32_e32 v1, v1
	s_nop 0
	v_mul_f32_e32 v1, 0x4f7ffffe, v1
	v_cvt_u32_f32_e32 v1, v1
	s_waitcnt lgkmcnt(0)
	v_readfirstlane_b32 s15, v1
	s_mul_i32 s7, s7, s15
	s_mul_hi_u32 s7, s15, s7
	s_add_i32 s15, s15, s7
	s_mul_hi_u32 s7, s5, s15
	s_mul_i32 s16, s7, s22
	s_sub_i32 s5, s5, s16
	s_add_i32 s15, s7, 1
	s_sub_i32 s16, s5, s22
	s_cmp_ge_u32 s5, s22
	s_cselect_b32 s7, s15, s7
	s_cselect_b32 s5, s16, s5
	s_add_i32 s15, s7, 1
	s_cmp_ge_u32 s5, s22
	s_cselect_b32 s18, s15, s7
.LBB12_6:
	s_cmp_eq_u32 s6, s18
	s_waitcnt lgkmcnt(0)
	s_mul_hi_u32 s5, s6, s12
	s_cselect_b64 s[16:17], -1, 0
	s_add_i32 s5, s5, s6
	s_lshr_b32 s7, s5, s13
	s_mul_i32 s5, s7, s14
	s_cmp_eq_u32 s5, s6
	s_mul_hi_u32 s5, s18, s12
	s_cselect_b64 s[20:21], -1, 0
	s_add_i32 s5, s5, s18
	s_lshr_b32 s5, s5, s13
	s_cmp_eq_u32 s7, s5
	s_mul_i32 s5, s5, s14
	s_cselect_b64 s[24:25], -1, 0
	s_cmp_lg_u32 s5, s18
	s_cselect_b64 s[18:19], -1, 0
	s_and_b64 s[18:19], s[24:25], s[18:19]
	s_or_b64 s[16:17], s[16:17], s[20:21]
	s_or_b64 s[16:17], s[16:17], s[18:19]
	s_and_b64 vcc, exec, s[16:17]
	s_cbranch_vccnz .LBB12_23
; %bb.7:
	s_load_dwordx8 s[24:31], s[0:1], 0x20
	s_load_dword s15, s[0:1], 0x40
	s_waitcnt lgkmcnt(0)
	s_mul_hi_u32 s5, s6, s24
	s_add_i32 s5, s5, s6
	s_lshr_b32 s5, s5, s25
	s_mul_i32 s16, s5, s26
	s_sub_i32 s16, s6, s16
	s_mul_hi_u32 s17, s16, s27
	s_add_i32 s17, s16, s17
	s_lshr_b32 s21, s17, s28
	s_mul_i32 s17, s21, s29
	s_sub_i32 s16, s16, s17
	;; [unrolled: 5-line block ×3, first 2 shown]
	s_mul_hi_u32 s16, s15, s12
	s_add_i32 s15, s15, s16
	s_lshr_b32 s23, s15, s13
	s_lshl_b32 s15, s23, 1
	s_add_i32 s15, s15, s3
	s_cmp_lt_i32 s15, s8
	s_cselect_b64 s[16:17], -1, 0
	s_add_i32 s15, s20, s4
	s_cmp_lt_i32 s15, s10
	s_cselect_b64 s[18:19], -1, 0
	s_and_b64 s[16:17], s[16:17], s[18:19]
	s_andn2_b64 vcc, exec, s[16:17]
	s_cbranch_vccnz .LBB12_23
; %bb.8:
	s_load_dwordx4 s[16:19], s[0:1], 0x0
	s_mov_b32 s0, 0
	s_lshl_b32 s24, s22, 3
	s_mov_b32 s25, s0
	s_add_i32 s15, s3, s4
	s_waitcnt lgkmcnt(0)
	v_mov_b32_e32 v2, s16
	v_mov_b32_e32 v3, s17
	s_lshl_b64 s[16:17], s[24:25], 2
	s_add_u32 s16, s18, s16
	s_mul_i32 s1, s5, s8
	s_addc_u32 s17, s19, s17
	s_add_i32 s1, s1, s3
	s_mul_i32 s1, s1, s9
	s_mul_i32 s21, s21, s10
	s_add_i32 s1, s1, s4
	s_add_i32 s1, s1, s21
	s_mul_i32 s5, s9, s23
	s_add_i32 s1, s1, s20
	s_lshl_b32 s5, s5, 7
	s_lshl_b32 s1, s1, 6
	s_add_i32 s5, s5, s1
	v_or_b32_e32 v4, s5, v0
	v_ashrrev_i32_e32 v5, 31, v4
	v_lshl_add_u64 v[2:3], v[4:5], 2, v[2:3]
	global_load_dword v1, v[2:3], off
	v_cvt_f32_u32_e32 v4, s22
	s_lshl_b32 s1, s2, 1
	s_add_i32 s4, s1, s15
	s_ashr_i32 s5, s4, 31
	s_lshl_b64 s[4:5], s[4:5], 3
	v_rcp_iflag_f32_e32 v4, v4
	s_add_u32 s4, s18, s4
	s_addc_u32 s5, s19, s5
	s_load_dwordx2 s[4:5], s[4:5], 0x0
	v_mul_f32_e32 v4, 0x4f7ffffe, v4
	v_cvt_u32_f32_e32 v7, v4
	s_add_i32 s24, s2, -1
	v_lshl_or_b32 v6, s15, 6, v0
	s_waitcnt lgkmcnt(0)
	v_mov_b32_e32 v0, s5
	v_mov_b32_e32 v9, s4
	s_mov_b32 s10, 0x3fb8aa3b
	s_mov_b32 s20, 0xc2ce8ed0
	;; [unrolled: 1-line block ×4, first 2 shown]
	v_mov_b32_e32 v8, 0x7f800000
	s_mul_hi_i32 s1, s24, s11
	s_cmp_lg_u64 s[0:1], 0
	s_mul_i32 s8, s24, s11
	s_cbranch_scc0 .LBB12_19
.LBB12_9:
	s_add_u32 s2, s22, 0
	s_addc_u32 s3, 0, 0
	s_xor_b64 s[2:3], s[2:3], 0
	v_cvt_f32_u32_e32 v4, s2
	v_cvt_f32_u32_e32 v5, s3
	s_sub_u32 s9, 0, s2
	s_subb_u32 s25, 0, s3
	v_fmac_f32_e32 v4, 0x4f800000, v5
	v_rcp_f32_e32 v4, v4
	s_nop 0
	v_mul_f32_e32 v4, 0x5f7ffffc, v4
	v_mul_f32_e32 v5, 0x2f800000, v4
	v_trunc_f32_e32 v5, v5
	v_fmac_f32_e32 v4, 0xcf800000, v5
	v_cvt_u32_f32_e32 v5, v5
	v_cvt_u32_f32_e32 v4, v4
	v_readfirstlane_b32 s26, v5
	v_readfirstlane_b32 s4, v4
	s_mul_i32 s5, s9, s26
	s_mul_hi_u32 s28, s9, s4
	s_mul_i32 s27, s25, s4
	s_add_i32 s5, s28, s5
	s_mul_i32 s29, s9, s4
	s_add_i32 s5, s5, s27
	s_mul_i32 s28, s4, s5
	s_mul_hi_u32 s30, s4, s29
	s_mul_hi_u32 s27, s4, s5
	s_add_u32 s28, s30, s28
	s_addc_u32 s27, 0, s27
	s_mul_hi_u32 s31, s26, s29
	s_mul_i32 s29, s26, s29
	s_add_u32 s28, s28, s29
	s_mul_hi_u32 s30, s26, s5
	s_addc_u32 s27, s27, s31
	s_addc_u32 s28, s30, 0
	s_mul_i32 s5, s26, s5
	s_add_u32 s5, s27, s5
	s_addc_u32 s27, 0, s28
	s_add_u32 s28, s4, s5
	s_cselect_b64 s[4:5], -1, 0
	s_cmp_lg_u64 s[4:5], 0
	s_addc_u32 s26, s26, s27
	s_mul_i32 s4, s9, s26
	s_mul_hi_u32 s5, s9, s28
	s_add_i32 s4, s5, s4
	s_mul_i32 s25, s25, s28
	s_add_i32 s4, s4, s25
	s_mul_i32 s9, s9, s28
	s_mul_hi_u32 s25, s26, s9
	s_mul_i32 s27, s26, s9
	s_mul_i32 s30, s28, s4
	s_mul_hi_u32 s9, s28, s9
	s_mul_hi_u32 s29, s28, s4
	s_add_u32 s9, s9, s30
	s_addc_u32 s29, 0, s29
	s_add_u32 s9, s9, s27
	s_mul_hi_u32 s5, s26, s4
	s_addc_u32 s9, s29, s25
	s_addc_u32 s5, s5, 0
	s_mul_i32 s4, s26, s4
	s_add_u32 s4, s9, s4
	s_addc_u32 s9, 0, s5
	s_add_u32 s25, s28, s4
	s_cselect_b64 s[4:5], -1, 0
	s_cmp_lg_u64 s[4:5], 0
	s_addc_u32 s9, s26, s9
	s_ashr_i32 s4, s1, 31
	s_add_u32 s26, s8, s4
	s_mov_b32 s5, s4
	s_addc_u32 s27, s1, s4
	s_xor_b64 s[26:27], s[26:27], s[4:5]
	s_mul_i32 s28, s26, s9
	s_mul_hi_u32 s29, s26, s25
	s_mul_hi_u32 s1, s26, s9
	s_add_u32 s28, s29, s28
	s_addc_u32 s1, 0, s1
	s_mul_hi_u32 s30, s27, s25
	s_mul_i32 s25, s27, s25
	s_add_u32 s25, s28, s25
	s_mul_hi_u32 s29, s27, s9
	s_addc_u32 s1, s1, s30
	s_addc_u32 s25, s29, 0
	s_mul_i32 s9, s27, s9
	s_add_u32 s1, s1, s9
	s_addc_u32 s9, 0, s25
	s_mul_i32 s25, s2, s9
	s_mul_hi_u32 s28, s2, s1
	s_add_i32 s25, s28, s25
	s_mul_i32 s28, s3, s1
	s_add_i32 s25, s25, s28
	s_sub_i32 s30, s27, s25
	s_mul_i32 s28, s2, s1
	s_sub_u32 s26, s26, s28
	s_cselect_b64 s[28:29], -1, 0
	s_cmp_lg_u64 s[28:29], 0
	s_subb_u32 s33, s30, s3
	s_sub_u32 s34, s26, s2
	s_cselect_b64 s[30:31], -1, 0
	s_cmp_lg_u64 s[30:31], 0
	s_subb_u32 s30, s33, 0
	s_cmp_ge_u32 s30, s3
	s_cselect_b32 s31, -1, 0
	s_cmp_ge_u32 s34, s2
	s_cselect_b32 s33, -1, 0
	s_cmp_eq_u32 s30, s3
	s_cselect_b32 s30, s33, s31
	s_add_u32 s31, s1, 1
	s_addc_u32 s33, s9, 0
	s_add_u32 s34, s1, 2
	s_addc_u32 s35, s9, 0
	s_cmp_lg_u32 s30, 0
	s_cselect_b32 s30, s34, s31
	s_cselect_b32 s31, s35, s33
	s_cmp_lg_u64 s[28:29], 0
	s_subb_u32 s25, s27, s25
	s_cmp_ge_u32 s25, s3
	s_cselect_b32 s27, -1, 0
	s_cmp_ge_u32 s26, s2
	s_cselect_b32 s2, -1, 0
	s_cmp_eq_u32 s25, s3
	s_cselect_b32 s2, s2, s27
	s_cmp_lg_u32 s2, 0
	s_cselect_b32 s3, s31, s9
	s_cselect_b32 s2, s30, s1
	s_xor_b64 s[4:5], s[4:5], 0
	s_xor_b64 s[2:3], s[2:3], s[4:5]
	s_sub_u32 s4, s2, s4
	s_cbranch_execnz .LBB12_11
.LBB12_10:
	s_sub_i32 s1, 0, s22
	v_readfirstlane_b32 s2, v7
	s_mul_i32 s1, s1, s2
	s_mul_hi_u32 s1, s2, s1
	s_add_i32 s2, s2, s1
	s_mul_hi_u32 s1, s8, s2
	s_mul_i32 s3, s1, s22
	s_sub_i32 s3, s8, s3
	s_add_i32 s2, s1, 1
	s_sub_i32 s4, s3, s22
	s_cmp_ge_u32 s3, s22
	s_cselect_b32 s1, s2, s1
	s_cselect_b32 s3, s4, s3
	s_add_i32 s2, s1, 1
	s_cmp_ge_u32 s3, s22
	s_cselect_b32 s4, s2, s1
.LBB12_11:
	s_cmp_lg_u32 s6, s4
	s_cbranch_scc0 .LBB12_15
; %bb.12:
	s_add_i32 s1, s24, s22
	s_lshl_b32 s1, s1, 1
	s_add_i32 s2, s1, s15
	s_mov_b32 s3, s0
	s_lshl_b64 s[2:3], s[2:3], 3
	s_add_u32 s8, s18, s2
	s_mul_hi_u32 s1, s4, s12
	s_addc_u32 s9, s19, s3
	s_add_i32 s1, s1, s4
	s_lshr_b32 s1, s1, s13
	s_mul_i32 s2, s1, s14
	s_cmp_eq_u32 s2, s4
	s_cselect_b64 s[2:3], -1, 0
	s_cmp_lt_u32 s1, s7
	s_cselect_b64 s[26:27], -1, 0
	s_or_b64 s[26:27], s[26:27], s[2:3]
	s_mov_b64 s[2:3], -1
	s_and_b64 vcc, exec, s[26:27]
	s_mov_b32 s1, s24
	s_mov_b32 s25, s6
	s_cbranch_vccnz .LBB12_14
; %bb.13:
	s_add_i32 s1, s24, -1
	s_mov_b64 s[2:3], 0
	s_mov_b32 s25, s4
.LBB12_14:
	v_lshl_add_u32 v4, s24, 7, v6
	v_ashrrev_i32_e32 v5, 31, v4
	v_lshl_add_u64 v[4:5], v[4:5], 2, s[16:17]
	global_load_dword v5, v[4:5], off
	s_load_dwordx2 s[4:5], s[8:9], 0x0
	v_max_f32_e32 v4, v9, v9
	s_waitcnt lgkmcnt(0)
	v_max_f32_e64 v10, s4, s4
	v_max_f32_e32 v10, v4, v10
	v_sub_f32_e32 v11, v9, v10
	v_sub_f32_e32 v13, s4, v10
	v_mul_f32_e32 v4, 0x3fb8aa3b, v11
	v_mul_f32_e32 v12, 0x3fb8aa3b, v13
	v_fma_f32 v14, v11, s10, -v4
	v_rndne_f32_e32 v15, v4
	v_fma_f32 v16, v13, s10, -v12
	v_rndne_f32_e32 v17, v12
	v_fmac_f32_e32 v14, 0x32a5705f, v11
	v_sub_f32_e32 v4, v4, v15
	v_fmac_f32_e32 v16, 0x32a5705f, v13
	v_sub_f32_e32 v12, v12, v17
	v_add_f32_e32 v4, v4, v14
	v_cvt_i32_f32_e32 v15, v15
	v_add_f32_e32 v12, v12, v16
	v_exp_f32_e32 v14, v4
	v_cvt_i32_f32_e32 v17, v17
	v_exp_f32_e32 v12, v12
	v_cmp_ngt_f32_e32 vcc, s20, v11
	v_ldexp_f32 v14, v14, v15
	v_mov_b32_e32 v4, s5
	v_ldexp_f32 v12, v12, v17
	v_cndmask_b32_e32 v14, 0, v14, vcc
	v_cmp_ngt_f32_e32 vcc, s20, v13
	s_nop 1
	v_cndmask_b32_e32 v12, 0, v12, vcc
	v_cmp_nlt_f32_e32 vcc, s21, v11
	s_nop 1
	v_cndmask_b32_e32 v14, v8, v14, vcc
	v_cmp_nlt_f32_e32 vcc, s21, v13
	s_nop 1
	v_cndmask_b32_e32 v15, v8, v12, vcc
	v_cmp_le_f32_e32 vcc, s23, v11
	s_nop 1
	v_cndmask_b32_e32 v12, 0, v14, vcc
	v_cmp_le_f32_e32 vcc, s23, v13
	s_nop 1
	v_cndmask_b32_e32 v14, 0, v15, vcc
	s_waitcnt vmcnt(0)
	v_pk_mul_f32 v[4:5], v[4:5], v[14:15] op_sel_hi:[1,0]
	s_nop 0
	v_pk_fma_f32 v[4:5], v[0:1], v[12:13], v[4:5] op_sel_hi:[1,0,1]
	s_cbranch_execz .LBB12_16
	s_branch .LBB12_17
.LBB12_15:
                                        ; implicit-def: $vgpr4_vgpr5
                                        ; implicit-def: $sgpr2_sgpr3
                                        ; implicit-def: $vgpr10
                                        ; implicit-def: $sgpr1
                                        ; implicit-def: $sgpr25
.LBB12_16:
	s_add_i32 s1, s24, -1
	s_mov_b64 s[2:3], 0
	s_mov_b32 s25, s6
	v_mov_b32_e32 v10, v9
	s_waitcnt vmcnt(0)
	v_mov_b64_e32 v[4:5], v[0:1]
.LBB12_17:
	s_andn2_b64 vcc, exec, s[2:3]
	s_cbranch_vccz .LBB12_22
; %bb.18:
	s_mov_b32 s6, s25
	s_mov_b32 s24, s1
	v_mov_b32_e32 v9, v10
	s_waitcnt vmcnt(0)
	v_mov_b64_e32 v[0:1], v[4:5]
	s_mul_hi_i32 s1, s24, s11
	s_cmp_lg_u64 s[0:1], 0
	s_mul_i32 s8, s24, s11
	s_cbranch_scc1 .LBB12_9
.LBB12_19:
                                        ; implicit-def: $sgpr4_sgpr5
	s_branch .LBB12_10
.LBB12_20:
                                        ; implicit-def: $sgpr6_sgpr7
	s_load_dwordx4 s[12:15], s[0:1], 0x44
	s_branch .LBB12_2
.LBB12_21:
                                        ; implicit-def: $sgpr18_sgpr19
	s_branch .LBB12_5
.LBB12_22:
	v_div_scale_f32 v0, s[0:1], v4, v4, v5
	s_waitcnt vmcnt(0)
	v_rcp_f32_e32 v1, v0
	v_div_scale_f32 v6, vcc, v5, v4, v5
	v_fma_f32 v7, -v0, v1, 1.0
	v_fmac_f32_e32 v1, v7, v1
	v_mul_f32_e32 v7, v6, v1
	v_fma_f32 v8, -v0, v7, v6
	v_fmac_f32_e32 v7, v8, v1
	v_fma_f32 v0, -v0, v7, v6
	v_div_fmas_f32 v0, v0, v1, v7
	v_div_fixup_f32 v0, v0, v4, v5
	global_store_dword v[2:3], v0, off
.LBB12_23:
	s_endpgm
	.section	.rodata,"a",@progbits
	.p2align	6, 0x0
	.amdhsa_kernel _ZL33flash_attn_stream_k_fixup_generalILi64ELi2ELi1EEvPfPK15HIP_vector_typeIfLj2EEiiiiS1_IjLj3EES5_S5_S5_
		.amdhsa_group_segment_fixed_size 0
		.amdhsa_private_segment_fixed_size 0
		.amdhsa_kernarg_size 336
		.amdhsa_user_sgpr_count 2
		.amdhsa_user_sgpr_dispatch_ptr 0
		.amdhsa_user_sgpr_queue_ptr 0
		.amdhsa_user_sgpr_kernarg_segment_ptr 1
		.amdhsa_user_sgpr_dispatch_id 0
		.amdhsa_user_sgpr_kernarg_preload_length 0
		.amdhsa_user_sgpr_kernarg_preload_offset 0
		.amdhsa_user_sgpr_private_segment_size 0
		.amdhsa_uses_dynamic_stack 0
		.amdhsa_enable_private_segment 0
		.amdhsa_system_sgpr_workgroup_id_x 1
		.amdhsa_system_sgpr_workgroup_id_y 1
		.amdhsa_system_sgpr_workgroup_id_z 1
		.amdhsa_system_sgpr_workgroup_info 0
		.amdhsa_system_vgpr_workitem_id 0
		.amdhsa_next_free_vgpr 18
		.amdhsa_next_free_sgpr 36
		.amdhsa_accum_offset 20
		.amdhsa_reserve_vcc 1
		.amdhsa_float_round_mode_32 0
		.amdhsa_float_round_mode_16_64 0
		.amdhsa_float_denorm_mode_32 3
		.amdhsa_float_denorm_mode_16_64 3
		.amdhsa_dx10_clamp 1
		.amdhsa_ieee_mode 1
		.amdhsa_fp16_overflow 0
		.amdhsa_tg_split 0
		.amdhsa_exception_fp_ieee_invalid_op 0
		.amdhsa_exception_fp_denorm_src 0
		.amdhsa_exception_fp_ieee_div_zero 0
		.amdhsa_exception_fp_ieee_overflow 0
		.amdhsa_exception_fp_ieee_underflow 0
		.amdhsa_exception_fp_ieee_inexact 0
		.amdhsa_exception_int_div_zero 0
	.end_amdhsa_kernel
	.section	.text._ZL33flash_attn_stream_k_fixup_generalILi64ELi2ELi1EEvPfPK15HIP_vector_typeIfLj2EEiiiiS1_IjLj3EES5_S5_S5_,"axG",@progbits,_ZL33flash_attn_stream_k_fixup_generalILi64ELi2ELi1EEvPfPK15HIP_vector_typeIfLj2EEiiiiS1_IjLj3EES5_S5_S5_,comdat
.Lfunc_end12:
	.size	_ZL33flash_attn_stream_k_fixup_generalILi64ELi2ELi1EEvPfPK15HIP_vector_typeIfLj2EEiiiiS1_IjLj3EES5_S5_S5_, .Lfunc_end12-_ZL33flash_attn_stream_k_fixup_generalILi64ELi2ELi1EEvPfPK15HIP_vector_typeIfLj2EEiiiiS1_IjLj3EES5_S5_S5_
                                        ; -- End function
	.set _ZL33flash_attn_stream_k_fixup_generalILi64ELi2ELi1EEvPfPK15HIP_vector_typeIfLj2EEiiiiS1_IjLj3EES5_S5_S5_.num_vgpr, 18
	.set _ZL33flash_attn_stream_k_fixup_generalILi64ELi2ELi1EEvPfPK15HIP_vector_typeIfLj2EEiiiiS1_IjLj3EES5_S5_S5_.num_agpr, 0
	.set _ZL33flash_attn_stream_k_fixup_generalILi64ELi2ELi1EEvPfPK15HIP_vector_typeIfLj2EEiiiiS1_IjLj3EES5_S5_S5_.numbered_sgpr, 36
	.set _ZL33flash_attn_stream_k_fixup_generalILi64ELi2ELi1EEvPfPK15HIP_vector_typeIfLj2EEiiiiS1_IjLj3EES5_S5_S5_.num_named_barrier, 0
	.set _ZL33flash_attn_stream_k_fixup_generalILi64ELi2ELi1EEvPfPK15HIP_vector_typeIfLj2EEiiiiS1_IjLj3EES5_S5_S5_.private_seg_size, 0
	.set _ZL33flash_attn_stream_k_fixup_generalILi64ELi2ELi1EEvPfPK15HIP_vector_typeIfLj2EEiiiiS1_IjLj3EES5_S5_S5_.uses_vcc, 1
	.set _ZL33flash_attn_stream_k_fixup_generalILi64ELi2ELi1EEvPfPK15HIP_vector_typeIfLj2EEiiiiS1_IjLj3EES5_S5_S5_.uses_flat_scratch, 0
	.set _ZL33flash_attn_stream_k_fixup_generalILi64ELi2ELi1EEvPfPK15HIP_vector_typeIfLj2EEiiiiS1_IjLj3EES5_S5_S5_.has_dyn_sized_stack, 0
	.set _ZL33flash_attn_stream_k_fixup_generalILi64ELi2ELi1EEvPfPK15HIP_vector_typeIfLj2EEiiiiS1_IjLj3EES5_S5_S5_.has_recursion, 0
	.set _ZL33flash_attn_stream_k_fixup_generalILi64ELi2ELi1EEvPfPK15HIP_vector_typeIfLj2EEiiiiS1_IjLj3EES5_S5_S5_.has_indirect_call, 0
	.section	.AMDGPU.csdata,"",@progbits
; Kernel info:
; codeLenInByte = 2932
; TotalNumSgprs: 42
; NumVgprs: 18
; NumAgprs: 0
; TotalNumVgprs: 18
; ScratchSize: 0
; MemoryBound: 0
; FloatMode: 240
; IeeeMode: 1
; LDSByteSize: 0 bytes/workgroup (compile time only)
; SGPRBlocks: 5
; VGPRBlocks: 2
; NumSGPRsForWavesPerEU: 42
; NumVGPRsForWavesPerEU: 18
; AccumOffset: 20
; Occupancy: 8
; WaveLimiterHint : 0
; COMPUTE_PGM_RSRC2:SCRATCH_EN: 0
; COMPUTE_PGM_RSRC2:USER_SGPR: 2
; COMPUTE_PGM_RSRC2:TRAP_HANDLER: 0
; COMPUTE_PGM_RSRC2:TGID_X_EN: 1
; COMPUTE_PGM_RSRC2:TGID_Y_EN: 1
; COMPUTE_PGM_RSRC2:TGID_Z_EN: 1
; COMPUTE_PGM_RSRC2:TIDIG_COMP_CNT: 0
; COMPUTE_PGM_RSRC3_GFX90A:ACCUM_OFFSET: 4
; COMPUTE_PGM_RSRC3_GFX90A:TG_SPLIT: 0
	.section	.text._ZL18flash_attn_ext_vecILi64ELi2EL9ggml_type7ELS0_7ELb1EEvPKcS2_S2_S2_S2_PKiPfP15HIP_vector_typeIfLj2EEffffjfiS6_IjLj3EEiiiiiiiiiiiliiliiiiil,"axG",@progbits,_ZL18flash_attn_ext_vecILi64ELi2EL9ggml_type7ELS0_7ELb1EEvPKcS2_S2_S2_S2_PKiPfP15HIP_vector_typeIfLj2EEffffjfiS6_IjLj3EEiiiiiiiiiiiliiliiiiil,comdat
	.globl	_ZL18flash_attn_ext_vecILi64ELi2EL9ggml_type7ELS0_7ELb1EEvPKcS2_S2_S2_S2_PKiPfP15HIP_vector_typeIfLj2EEffffjfiS6_IjLj3EEiiiiiiiiiiiliiliiiiil ; -- Begin function _ZL18flash_attn_ext_vecILi64ELi2EL9ggml_type7ELS0_7ELb1EEvPKcS2_S2_S2_S2_PKiPfP15HIP_vector_typeIfLj2EEffffjfiS6_IjLj3EEiiiiiiiiiiiliiliiiiil
	.p2align	8
	.type	_ZL18flash_attn_ext_vecILi64ELi2EL9ggml_type7ELS0_7ELb1EEvPKcS2_S2_S2_S2_PKiPfP15HIP_vector_typeIfLj2EEffffjfiS6_IjLj3EEiiiiiiiiiiiliiliiiiil,@function
_ZL18flash_attn_ext_vecILi64ELi2EL9ggml_type7ELS0_7ELb1EEvPKcS2_S2_S2_S2_PKiPfP15HIP_vector_typeIfLj2EEffffjfiS6_IjLj3EEiiiiiiiiiiiliiliiiiil: ; @_ZL18flash_attn_ext_vecILi64ELi2EL9ggml_type7ELS0_7ELb1EEvPKcS2_S2_S2_S2_PKiPfP15HIP_vector_typeIfLj2EEffffjfiS6_IjLj3EEiiiiiiiiiiiliiliiiiil
; %bb.0:
	s_add_u32 s8, s0, 0xd0
	s_addc_u32 s9, s1, 0
	s_getpc_b64 s[0:1]
	s_add_u32 s0, s0, _ZL14no_device_codePKciS0_iS0_@rel32@lo+4
	s_addc_u32 s1, s1, _ZL14no_device_codePKciS0_iS0_@rel32@hi+12
	s_mov_b32 s32, 0
	s_swappc_b64 s[30:31], s[0:1]
	.section	.rodata,"a",@progbits
	.p2align	6, 0x0
	.amdhsa_kernel _ZL18flash_attn_ext_vecILi64ELi2EL9ggml_type7ELS0_7ELb1EEvPKcS2_S2_S2_S2_PKiPfP15HIP_vector_typeIfLj2EEffffjfiS6_IjLj3EEiiiiiiiiiiiliiliiiiil
		.amdhsa_group_segment_fixed_size 0
		.amdhsa_private_segment_fixed_size 16
		.amdhsa_kernarg_size 464
		.amdhsa_user_sgpr_count 2
		.amdhsa_user_sgpr_dispatch_ptr 0
		.amdhsa_user_sgpr_queue_ptr 0
		.amdhsa_user_sgpr_kernarg_segment_ptr 1
		.amdhsa_user_sgpr_dispatch_id 0
		.amdhsa_user_sgpr_kernarg_preload_length 0
		.amdhsa_user_sgpr_kernarg_preload_offset 0
		.amdhsa_user_sgpr_private_segment_size 0
		.amdhsa_uses_dynamic_stack 0
		.amdhsa_enable_private_segment 1
		.amdhsa_system_sgpr_workgroup_id_x 1
		.amdhsa_system_sgpr_workgroup_id_y 0
		.amdhsa_system_sgpr_workgroup_id_z 0
		.amdhsa_system_sgpr_workgroup_info 0
		.amdhsa_system_vgpr_workitem_id 0
		.amdhsa_next_free_vgpr 52
		.amdhsa_next_free_sgpr 34
		.amdhsa_accum_offset 52
		.amdhsa_reserve_vcc 1
		.amdhsa_float_round_mode_32 0
		.amdhsa_float_round_mode_16_64 0
		.amdhsa_float_denorm_mode_32 3
		.amdhsa_float_denorm_mode_16_64 3
		.amdhsa_dx10_clamp 1
		.amdhsa_ieee_mode 1
		.amdhsa_fp16_overflow 0
		.amdhsa_tg_split 0
		.amdhsa_exception_fp_ieee_invalid_op 0
		.amdhsa_exception_fp_denorm_src 0
		.amdhsa_exception_fp_ieee_div_zero 0
		.amdhsa_exception_fp_ieee_overflow 0
		.amdhsa_exception_fp_ieee_underflow 0
		.amdhsa_exception_fp_ieee_inexact 0
		.amdhsa_exception_int_div_zero 0
	.end_amdhsa_kernel
	.section	.text._ZL18flash_attn_ext_vecILi64ELi2EL9ggml_type7ELS0_7ELb1EEvPKcS2_S2_S2_S2_PKiPfP15HIP_vector_typeIfLj2EEffffjfiS6_IjLj3EEiiiiiiiiiiiliiliiiiil,"axG",@progbits,_ZL18flash_attn_ext_vecILi64ELi2EL9ggml_type7ELS0_7ELb1EEvPKcS2_S2_S2_S2_PKiPfP15HIP_vector_typeIfLj2EEffffjfiS6_IjLj3EEiiiiiiiiiiiliiliiiiil,comdat
.Lfunc_end13:
	.size	_ZL18flash_attn_ext_vecILi64ELi2EL9ggml_type7ELS0_7ELb1EEvPKcS2_S2_S2_S2_PKiPfP15HIP_vector_typeIfLj2EEffffjfiS6_IjLj3EEiiiiiiiiiiiliiliiiiil, .Lfunc_end13-_ZL18flash_attn_ext_vecILi64ELi2EL9ggml_type7ELS0_7ELb1EEvPKcS2_S2_S2_S2_PKiPfP15HIP_vector_typeIfLj2EEffffjfiS6_IjLj3EEiiiiiiiiiiiliiliiiiil
                                        ; -- End function
	.set _ZL18flash_attn_ext_vecILi64ELi2EL9ggml_type7ELS0_7ELb1EEvPKcS2_S2_S2_S2_PKiPfP15HIP_vector_typeIfLj2EEffffjfiS6_IjLj3EEiiiiiiiiiiiliiliiiiil.num_vgpr, max(0, .L_ZL14no_device_codePKciS0_iS0_.num_vgpr)
	.set _ZL18flash_attn_ext_vecILi64ELi2EL9ggml_type7ELS0_7ELb1EEvPKcS2_S2_S2_S2_PKiPfP15HIP_vector_typeIfLj2EEffffjfiS6_IjLj3EEiiiiiiiiiiiliiliiiiil.num_agpr, max(0, .L_ZL14no_device_codePKciS0_iS0_.num_agpr)
	.set _ZL18flash_attn_ext_vecILi64ELi2EL9ggml_type7ELS0_7ELb1EEvPKcS2_S2_S2_S2_PKiPfP15HIP_vector_typeIfLj2EEffffjfiS6_IjLj3EEiiiiiiiiiiiliiliiiiil.numbered_sgpr, max(33, .L_ZL14no_device_codePKciS0_iS0_.numbered_sgpr)
	.set _ZL18flash_attn_ext_vecILi64ELi2EL9ggml_type7ELS0_7ELb1EEvPKcS2_S2_S2_S2_PKiPfP15HIP_vector_typeIfLj2EEffffjfiS6_IjLj3EEiiiiiiiiiiiliiliiiiil.num_named_barrier, max(0, .L_ZL14no_device_codePKciS0_iS0_.num_named_barrier)
	.set _ZL18flash_attn_ext_vecILi64ELi2EL9ggml_type7ELS0_7ELb1EEvPKcS2_S2_S2_S2_PKiPfP15HIP_vector_typeIfLj2EEffffjfiS6_IjLj3EEiiiiiiiiiiiliiliiiiil.private_seg_size, 0+max(.L_ZL14no_device_codePKciS0_iS0_.private_seg_size)
	.set _ZL18flash_attn_ext_vecILi64ELi2EL9ggml_type7ELS0_7ELb1EEvPKcS2_S2_S2_S2_PKiPfP15HIP_vector_typeIfLj2EEffffjfiS6_IjLj3EEiiiiiiiiiiiliiliiiiil.uses_vcc, or(1, .L_ZL14no_device_codePKciS0_iS0_.uses_vcc)
	.set _ZL18flash_attn_ext_vecILi64ELi2EL9ggml_type7ELS0_7ELb1EEvPKcS2_S2_S2_S2_PKiPfP15HIP_vector_typeIfLj2EEffffjfiS6_IjLj3EEiiiiiiiiiiiliiliiiiil.uses_flat_scratch, or(0, .L_ZL14no_device_codePKciS0_iS0_.uses_flat_scratch)
	.set _ZL18flash_attn_ext_vecILi64ELi2EL9ggml_type7ELS0_7ELb1EEvPKcS2_S2_S2_S2_PKiPfP15HIP_vector_typeIfLj2EEffffjfiS6_IjLj3EEiiiiiiiiiiiliiliiiiil.has_dyn_sized_stack, or(0, .L_ZL14no_device_codePKciS0_iS0_.has_dyn_sized_stack)
	.set _ZL18flash_attn_ext_vecILi64ELi2EL9ggml_type7ELS0_7ELb1EEvPKcS2_S2_S2_S2_PKiPfP15HIP_vector_typeIfLj2EEffffjfiS6_IjLj3EEiiiiiiiiiiiliiliiiiil.has_recursion, or(0, .L_ZL14no_device_codePKciS0_iS0_.has_recursion)
	.set _ZL18flash_attn_ext_vecILi64ELi2EL9ggml_type7ELS0_7ELb1EEvPKcS2_S2_S2_S2_PKiPfP15HIP_vector_typeIfLj2EEffffjfiS6_IjLj3EEiiiiiiiiiiiliiliiiiil.has_indirect_call, or(0, .L_ZL14no_device_codePKciS0_iS0_.has_indirect_call)
	.section	.AMDGPU.csdata,"",@progbits
; Kernel info:
; codeLenInByte = 40
; TotalNumSgprs: 40
; NumVgprs: 52
; NumAgprs: 0
; TotalNumVgprs: 52
; ScratchSize: 16
; MemoryBound: 0
; FloatMode: 240
; IeeeMode: 1
; LDSByteSize: 0 bytes/workgroup (compile time only)
; SGPRBlocks: 4
; VGPRBlocks: 6
; NumSGPRsForWavesPerEU: 40
; NumVGPRsForWavesPerEU: 52
; AccumOffset: 52
; Occupancy: 8
; WaveLimiterHint : 1
; COMPUTE_PGM_RSRC2:SCRATCH_EN: 1
; COMPUTE_PGM_RSRC2:USER_SGPR: 2
; COMPUTE_PGM_RSRC2:TRAP_HANDLER: 0
; COMPUTE_PGM_RSRC2:TGID_X_EN: 1
; COMPUTE_PGM_RSRC2:TGID_Y_EN: 0
; COMPUTE_PGM_RSRC2:TGID_Z_EN: 0
; COMPUTE_PGM_RSRC2:TIDIG_COMP_CNT: 0
; COMPUTE_PGM_RSRC3_GFX90A:ACCUM_OFFSET: 12
; COMPUTE_PGM_RSRC3_GFX90A:TG_SPLIT: 0
	.section	.text._ZL18flash_attn_ext_vecILi128ELi1EL9ggml_type7ELS0_7ELb0EEvPKcS2_S2_S2_S2_PKiPfP15HIP_vector_typeIfLj2EEffffjfiS6_IjLj3EEiiiiiiiiiiiliiliiiiil,"axG",@progbits,_ZL18flash_attn_ext_vecILi128ELi1EL9ggml_type7ELS0_7ELb0EEvPKcS2_S2_S2_S2_PKiPfP15HIP_vector_typeIfLj2EEffffjfiS6_IjLj3EEiiiiiiiiiiiliiliiiiil,comdat
	.globl	_ZL18flash_attn_ext_vecILi128ELi1EL9ggml_type7ELS0_7ELb0EEvPKcS2_S2_S2_S2_PKiPfP15HIP_vector_typeIfLj2EEffffjfiS6_IjLj3EEiiiiiiiiiiiliiliiiiil ; -- Begin function _ZL18flash_attn_ext_vecILi128ELi1EL9ggml_type7ELS0_7ELb0EEvPKcS2_S2_S2_S2_PKiPfP15HIP_vector_typeIfLj2EEffffjfiS6_IjLj3EEiiiiiiiiiiiliiliiiiil
	.p2align	8
	.type	_ZL18flash_attn_ext_vecILi128ELi1EL9ggml_type7ELS0_7ELb0EEvPKcS2_S2_S2_S2_PKiPfP15HIP_vector_typeIfLj2EEffffjfiS6_IjLj3EEiiiiiiiiiiiliiliiiiil,@function
_ZL18flash_attn_ext_vecILi128ELi1EL9ggml_type7ELS0_7ELb0EEvPKcS2_S2_S2_S2_PKiPfP15HIP_vector_typeIfLj2EEffffjfiS6_IjLj3EEiiiiiiiiiiiliiliiiiil: ; @_ZL18flash_attn_ext_vecILi128ELi1EL9ggml_type7ELS0_7ELb0EEvPKcS2_S2_S2_S2_PKiPfP15HIP_vector_typeIfLj2EEffffjfiS6_IjLj3EEiiiiiiiiiiiliiliiiiil
; %bb.0:
	s_load_dwordx2 s[34:35], s[0:1], 0x64
	s_load_dwordx2 s[42:43], s[0:1], 0x80
	;; [unrolled: 1-line block ×3, first 2 shown]
	v_mov_b32_e32 v184, 1.0
	s_waitcnt lgkmcnt(0)
	v_cvt_f32_u32_e32 v1, s35
	s_sub_i32 s5, 0, s35
	v_rcp_iflag_f32_e32 v1, v1
	s_nop 0
	v_mul_f32_e32 v1, 0x4f7ffffe, v1
	v_cvt_u32_f32_e32 v1, v1
	s_nop 0
	v_readfirstlane_b32 s6, v1
	s_mul_i32 s5, s5, s6
	s_mul_hi_u32 s5, s6, s5
	s_add_i32 s6, s6, s5
	s_mul_hi_u32 s5, s4, s6
	s_mul_i32 s6, s5, s35
	s_sub_i32 s6, s4, s6
	s_add_i32 s7, s5, 1
	s_sub_i32 s8, s6, s35
	s_cmp_ge_u32 s6, s35
	s_cselect_b32 s5, s7, s5
	s_cselect_b32 s6, s8, s6
	s_add_i32 s7, s5, 1
	s_cmp_ge_u32 s6, s35
	s_cselect_b32 s33, s7, s5
	s_abs_i32 s6, s43
	v_cvt_f32_u32_e32 v1, s6
	s_mul_i32 s15, s33, s35
	s_sub_i32 s16, 0, s6
	s_sub_i32 s40, s4, s15
	v_rcp_iflag_f32_e32 v1, v1
	s_abs_i32 s14, s35
	s_xor_b32 s7, s35, s43
	s_ashr_i32 s7, s7, 31
	v_mul_f32_e32 v1, 0x4f7ffffe, v1
	v_cvt_u32_f32_e32 v1, v1
	s_load_dwordx4 s[8:11], s[0:1], 0x40
	s_load_dword s5, s[0:1], 0x50
	v_readfirstlane_b32 s4, v1
	s_mul_i32 s16, s16, s4
	s_mul_hi_u32 s15, s4, s16
	s_add_i32 s4, s4, s15
	s_mul_hi_u32 s4, s14, s4
	s_mul_i32 s15, s4, s6
	s_sub_i32 s14, s14, s15
	s_add_i32 s16, s4, 1
	s_sub_i32 s15, s14, s6
	s_cmp_ge_u32 s14, s6
	s_cselect_b32 s4, s16, s4
	s_cselect_b32 s14, s15, s14
	s_add_i32 s15, s4, 1
	s_cmp_ge_u32 s14, s6
	s_cselect_b32 s4, s15, s4
	s_xor_b32 s4, s4, s7
	s_sub_i32 s36, s4, s7
	s_abs_i32 s45, s36
	s_abs_i32 s12, s12
	v_cvt_f32_u32_e32 v2, s45
	v_cvt_f32_u32_e32 v1, s12
	s_sub_i32 s6, 0, s45
	s_sub_i32 s4, 0, s12
	v_rcp_iflag_f32_e32 v2, v2
	v_rcp_iflag_f32_e32 v1, v1
	s_abs_i32 s46, s40
	s_abs_i32 s44, s33
	v_mul_f32_e32 v2, 0x4f7ffffe, v2
	v_mul_f32_e32 v1, 0x4f7ffffe, v1
	v_cvt_u32_f32_e32 v2, v2
	v_cvt_u32_f32_e32 v1, v1
	v_readfirstlane_b32 s14, v2
	v_readfirstlane_b32 s15, v1
	s_mul_i32 s6, s6, s14
	s_mul_i32 s4, s4, s15
	s_mul_hi_u32 s6, s14, s6
	s_add_i32 s14, s14, s6
	s_mul_hi_u32 s4, s15, s4
	s_waitcnt lgkmcnt(0)
	v_cmp_le_f32_e64 s[6:7], s9, 0
	s_add_i32 s15, s15, s4
	s_and_b64 vcc, exec, s[6:7]
	s_cbranch_vccnz .LBB14_2
; %bb.1:
	v_mov_b32_e32 v1, s5
	v_sub_co_u32_e32 v1, vcc, s40, v1
	v_mov_b32_e32 v2, s11
	v_mov_b32_e32 v3, s10
	s_add_i32 s4, s40, 1
	v_lshlrev_b32_e32 v1, 1, v1
	v_cndmask_b32_e32 v2, v2, v3, vcc
	v_or_b32_e32 v1, 1, v1
	v_mov_b32_e32 v3, s4
	v_cndmask_b32_e32 v1, v1, v3, vcc
	v_cvt_f32_i32_e32 v1, v1
	v_cmp_neq_f32_e32 vcc, 1.0, v2
	s_mov_b32 s4, 0x3f2aaaab
	s_movk_i32 s6, 0x204
	v_cndmask_b32_e32 v1, 1.0, v1, vcc
	v_cmp_neq_f32_e32 vcc, 0, v1
	s_mov_b32 s5, 0x42b17218
	s_mov_b32 s7, 0x3fb8aa3b
	v_cndmask_b32_e32 v18, 1.0, v2, vcc
	v_frexp_mant_f32_e64 v2, |v18|
	v_cmp_gt_f32_e32 vcc, s4, v2
	s_mov_b32 s4, 0x3f317218
	s_brev_b32 s16, -2
	v_cndmask_b32_e64 v3, 1.0, 2.0, vcc
	v_mul_f32_e32 v2, v2, v3
	v_add_f32_e32 v5, 1.0, v2
	v_rcp_f32_e32 v10, v5
	v_add_f32_e32 v3, -1.0, v5
	v_sub_f32_e32 v7, v2, v3
	v_add_f32_e32 v3, -1.0, v2
	v_mul_f32_e32 v11, v3, v10
	v_mul_f32_e32 v4, v5, v11
	v_fma_f32 v6, v11, v5, -v4
	v_fmac_f32_e32 v6, v11, v7
	v_add_f32_e32 v2, v4, v6
	v_sub_f32_e32 v5, v3, v2
	v_pk_add_f32 v[8:9], v[2:3], v[4:5] neg_lo:[0,1] neg_hi:[0,1]
	v_mov_b32_e32 v7, v2
	v_pk_add_f32 v[2:3], v[8:9], v[6:7] neg_lo:[0,1] neg_hi:[0,1]
	v_mov_b32_e32 v6, 0x3e91f4c4
	v_add_f32_e32 v2, v2, v3
	v_add_f32_e32 v2, v5, v2
	v_mul_f32_e32 v3, v10, v2
	v_add_f32_e32 v2, v11, v3
	v_sub_f32_e32 v4, v2, v11
	v_sub_f32_e32 v12, v3, v4
	v_mul_f32_e32 v3, v2, v2
	v_fma_f32 v5, v2, v2, -v3
	v_add_f32_e32 v4, v12, v12
	v_fmac_f32_e32 v5, v2, v4
	v_add_f32_e32 v4, v3, v5
	v_fmac_f32_e32 v6, 0x3e76c4e1, v4
	v_fmaak_f32 v6, v4, v6, 0x3ecccdef
	v_sub_f32_e32 v3, v4, v3
	v_sub_f32_e32 v13, v5, v3
	v_mul_f32_e32 v3, v4, v6
	v_fma_f32 v5, v4, v6, -v3
	v_fmac_f32_e32 v5, v13, v6
	v_add_f32_e32 v6, v3, v5
	v_add_f32_e32 v7, 0x3f2aaaaa, v6
	v_sub_f32_e32 v3, v6, v3
	v_sub_f32_e32 v3, v5, v3
	v_add_f32_e32 v5, 0xbf2aaaaa, v7
	v_add_f32_e32 v3, 0x31739010, v3
	v_sub_f32_e32 v5, v6, v5
	v_pk_mul_f32 v[8:9], v[2:3], v[4:5]
	v_pk_add_f32 v[10:11], v[2:3], v[4:5]
	v_fma_f32 v6, v4, v2, -v8
	v_fmac_f32_e32 v6, v4, v12
	v_mov_b32_e32 v9, v11
	v_fmac_f32_e32 v6, v13, v2
	v_pk_add_f32 v[4:5], v[8:9], v[6:7]
	v_ldexp_f32 v14, v12, 1
	v_sub_f32_e32 v3, v4, v8
	v_sub_f32_e32 v3, v6, v3
	;; [unrolled: 1-line block ×3, first 2 shown]
	v_add_f32_e32 v9, v11, v6
	v_pk_mul_f32 v[6:7], v[4:5], v[4:5] op_sel:[0,1] op_sel_hi:[1,0]
	v_cvt_f64_f32_e64 v[10:11], |v18|
	v_frexp_exp_i32_f64_e32 v7, v[10:11]
	v_subbrev_co_u32_e32 v7, vcc, 0, v7, vcc
	v_cvt_f32_i32_e32 v7, v7
	v_fma_f32 v8, v4, v5, -v6
	v_fmac_f32_e32 v8, v4, v9
	v_fmac_f32_e32 v8, v3, v5
	v_mul_f32_e32 v4, 0x3f317218, v7
	v_fma_f32 v3, v7, s4, -v4
	v_fmamk_f32 v10, v7, 0xb102e308, v3
	v_ldexp_f32 v11, v2, 1
	v_add_f32_e32 v5, v6, v8
	v_pk_add_f32 v[2:3], v[4:5], v[10:11]
	v_mov_b32_e32 v12, v5
	v_mov_b32_e32 v13, v3
	;; [unrolled: 1-line block ×3, first 2 shown]
	v_pk_add_f32 v[6:7], v[12:13], v[6:7] neg_lo:[0,1] neg_hi:[0,1]
	v_mov_b32_e32 v9, v5
	v_pk_add_f32 v[6:7], v[8:9], v[6:7] neg_lo:[0,1] neg_hi:[0,1]
	v_mov_b32_e32 v11, v2
	v_add_f32_e32 v5, v14, v6
	v_add_f32_e32 v5, v5, v7
	v_pk_add_f32 v[6:7], v[2:3], v[4:5] neg_lo:[0,1] neg_hi:[0,1]
	v_pk_add_f32 v[8:9], v[2:3], v[4:5]
	v_mov_b32_e32 v16, v3
	v_mov_b32_e32 v7, v9
	v_pk_add_f32 v[12:13], v[10:11], v[6:7] neg_lo:[0,1] neg_hi:[0,1]
	v_pk_add_f32 v[6:7], v[10:11], v[6:7]
	v_mov_b32_e32 v4, v5
	v_pk_add_f32 v[10:11], v[6:7], v[2:3] op_sel:[1,0] op_sel_hi:[0,1] neg_lo:[0,1] neg_hi:[0,1]
	v_pk_add_f32 v[14:15], v[8:9], v[10:11] op_sel_hi:[1,0] neg_lo:[0,1] neg_hi:[0,1]
	v_mov_b32_e32 v8, v9
	v_mov_b32_e32 v9, v7
	;; [unrolled: 1-line block ×3, first 2 shown]
	v_pk_add_f32 v[8:9], v[8:9], v[16:17] neg_lo:[0,1] neg_hi:[0,1]
	v_mov_b32_e32 v5, v2
	v_pk_add_f32 v[2:3], v[4:5], v[8:9] neg_lo:[0,1] neg_hi:[0,1]
	v_mov_b32_e32 v14, v12
	v_pk_add_f32 v[4:5], v[14:15], v[2:3]
	v_mov_b32_e32 v13, v7
	v_pk_add_f32 v[8:9], v[4:5], v[4:5] op_sel:[0,1] op_sel_hi:[1,0]
	s_mov_b32 s4, 0x7f800000
	v_pk_add_f32 v[6:7], v[6:7], v[8:9] op_sel:[1,0] op_sel_hi:[0,1]
	v_mov_b32_e32 v5, v6
	v_pk_add_f32 v[10:11], v[4:5], v[12:13] neg_lo:[0,1] neg_hi:[0,1]
	v_mov_b32_e32 v3, v8
	v_sub_f32_e32 v4, v4, v10
	v_pk_add_f32 v[2:3], v[2:3], v[10:11] neg_lo:[0,1] neg_hi:[0,1]
	v_sub_f32_e32 v4, v12, v4
	v_add_f32_e32 v2, v2, v4
	v_add_f32_e32 v2, v2, v3
	;; [unrolled: 1-line block ×3, first 2 shown]
	v_sub_f32_e32 v4, v3, v6
	v_sub_f32_e32 v2, v2, v4
	v_mul_f32_e32 v4, v1, v3
	v_fma_f32 v3, v1, v3, -v4
	v_fmac_f32_e32 v3, v1, v2
	v_add_f32_e32 v2, v4, v3
	v_cmp_class_f32_e64 vcc, v4, s6
	v_sub_f32_e32 v5, v2, v4
	v_sub_f32_e32 v3, v3, v5
	v_cndmask_b32_e32 v2, v2, v4, vcc
	v_mov_b32_e32 v4, 0x37000000
	v_cmp_eq_f32_e32 vcc, s5, v2
	v_cmp_class_f32_e64 s[10:11], v18, s6
	s_nop 0
	v_cndmask_b32_e32 v4, 0, v4, vcc
	v_sub_f32_e32 v5, v2, v4
	v_mul_f32_e32 v6, 0x3fb8aa3b, v5
	v_fma_f32 v7, v5, s7, -v6
	v_rndne_f32_e32 v8, v6
	v_fmamk_f32 v7, v5, 0x32a5705f, v7
	v_sub_f32_e32 v6, v6, v8
	v_add_f32_e32 v6, v6, v7
	v_exp_f32_e32 v6, v6
	v_cvt_i32_f32_e32 v7, v8
	v_cmp_neq_f32_e64 vcc, |v2|, s4
	s_mov_b32 s4, 0xc2ce8ed0
	s_nop 0
	v_cndmask_b32_e32 v2, 0, v3, vcc
	v_ldexp_f32 v3, v6, v7
	v_cmp_ngt_f32_e32 vcc, s4, v5
	v_add_f32_e32 v2, v4, v2
	v_mov_b32_e32 v4, 0x7f800000
	v_cndmask_b32_e32 v3, 0, v3, vcc
	v_cmp_nlt_f32_e32 vcc, s5, v5
	v_mov_b32_e32 v5, 0x7fc00000
	s_nop 0
	v_cndmask_b32_e32 v3, v4, v3, vcc
	v_fma_f32 v2, v3, v2, v3
	v_cmp_class_f32_e64 vcc, v3, s6
	v_cmp_gt_f32_e64 s[6:7], 0, v1
	s_nop 0
	v_cndmask_b32_e32 v2, v2, v3, vcc
	v_trunc_f32_e32 v3, v1
	v_cmp_eq_f32_e32 vcc, v3, v1
	v_mul_f32_e32 v3, 0.5, v1
	v_trunc_f32_e32 v6, v3
	v_cmp_neq_f32_e64 s[4:5], v6, v3
	s_and_b64 s[4:5], vcc, s[4:5]
	s_nop 0
	v_cndmask_b32_e64 v3, 1.0, v18, s[4:5]
	v_bfi_b32 v2, s16, v2, v3
	v_cndmask_b32_e32 v3, v5, v2, vcc
	v_cmp_gt_f32_e32 vcc, 0, v18
	s_nop 1
	v_cndmask_b32_e32 v2, v2, v3, vcc
	v_cmp_eq_f32_e32 vcc, 0, v18
	s_xor_b64 s[6:7], s[6:7], vcc
	v_cndmask_b32_e64 v1, v4, 0, s[6:7]
	v_cndmask_b32_e64 v3, 0, v18, s[4:5]
	v_bfi_b32 v1, s16, v1, v3
	s_or_b64 vcc, vcc, s[10:11]
	v_cndmask_b32_e32 v1, v2, v1, vcc
	v_cmp_o_f32_e32 vcc, v18, v18
	s_nop 1
	v_cndmask_b32_e32 v184, v5, v1, vcc
.LBB14_2:
	s_load_dwordx16 s[16:31], s[0:1], 0x0
	v_bfe_u32 v180, v0, 10, 10
	s_mul_hi_u32 s11, s46, s14
	s_mul_hi_u32 s10, s44, s15
	v_and_b32_e32 v181, 0x3ff, v0
	v_cmp_eq_u32_e64 s[14:15], 0, v180
	v_mbcnt_lo_u32_b32 v182, -1, 0
	s_and_saveexec_b64 s[4:5], s[14:15]
	s_cbranch_execz .LBB14_7
; %bb.3:
	s_load_dwordx4 s[48:51], s[0:1], 0x70
	v_lshlrev_b32_e32 v0, 4, v181
	v_mbcnt_hi_u32_b32 v2, -1, v182
	v_xor_b32_e32 v1, 4, v2
	v_xor_b32_e32 v3, 2, v2
	s_waitcnt lgkmcnt(0)
	s_mul_i32 s6, s33, s50
	s_mul_i32 s37, s48, s2
	;; [unrolled: 1-line block ×3, first 2 shown]
	s_add_i32 s6, s6, s37
	s_add_i32 s6, s6, s7
	s_ashr_i32 s7, s6, 31
	s_add_u32 s6, s16, s6
	s_addc_u32 s7, s17, s7
	global_load_dwordx4 v[8:11], v0, s[6:7]
	v_and_b32_e32 v0, 0x60, v2
	v_add_u32_e32 v7, 32, v0
	v_cmp_lt_i32_e32 vcc, v1, v7
	v_xor_b32_e32 v4, 1, v2
	s_waitcnt vmcnt(0)
	v_mul_f32_e32 v6, s8, v8
	v_cndmask_b32_e32 v0, v2, v1, vcc
	v_cmp_lt_i32_e32 vcc, v3, v7
	v_mul_f32_e32 v5, s8, v10
	s_nop 0
	v_cndmask_b32_e32 v1, v2, v3, vcc
	v_lshlrev_b32_e32 v3, 2, v0
	v_lshlrev_b32_e32 v12, 2, v1
	v_mov_b32_e32 v0, v11
	v_mov_b32_e32 v1, v9
	v_pk_mul_f32 v[0:1], s[8:9], v[0:1] op_sel_hi:[0,1]
	v_max_f32_e64 v9, |v6|, |v1|
	v_max3_f32 v9, v9, |v5|, |v0|
	ds_bpermute_b32 v11, v3, v9
	v_fma_f32 v8, s8, v8, v1
	v_fmac_f32_e32 v8, s8, v10
	v_add_f32_e32 v8, v8, v0
	ds_bpermute_b32 v3, v3, v8
	s_waitcnt lgkmcnt(1)
	v_max_f32_e32 v10, v11, v11
	v_max_f32_e32 v9, v9, v10
	ds_bpermute_b32 v10, v12, v9
	v_cmp_lt_i32_e32 vcc, v4, v7
	s_waitcnt lgkmcnt(1)
	v_add_f32_e32 v3, v8, v3
	s_mov_b32 s8, 0x42fe0000
	v_cndmask_b32_e32 v2, v2, v4, vcc
	s_waitcnt lgkmcnt(0)
	v_max_f32_e32 v7, v10, v10
	v_lshlrev_b32_e32 v2, 2, v2
	v_max_f32_e32 v8, v9, v7
	ds_bpermute_b32 v4, v12, v3
	ds_bpermute_b32 v9, v2, v8
	v_mov_b32_e32 v7, 0
	s_waitcnt lgkmcnt(1)
	v_add_f32_e32 v3, v3, v4
	s_waitcnt lgkmcnt(0)
	v_max_f32_e32 v4, v9, v9
	v_max_f32_e32 v8, v8, v4
	v_div_scale_f32 v9, s[6:7], s8, s8, v8
	v_rcp_f32_e32 v10, v9
	ds_bpermute_b32 v4, v2, v3
	v_div_scale_f32 v2, vcc, v8, s8, v8
	v_fma_f32 v11, -v9, v10, 1.0
	v_fmac_f32_e32 v10, v11, v10
	v_mul_f32_e32 v11, v2, v10
	v_fma_f32 v12, -v9, v11, v2
	v_fmac_f32_e32 v11, v12, v10
	v_fma_f32 v2, -v9, v11, v2
	v_div_fmas_f32 v2, v2, v10, v11
	v_div_fixup_f32 v2, v2, s8, v8
	v_cmp_neq_f32_e32 vcc, 0, v2
	s_and_saveexec_b64 s[6:7], vcc
	s_cbranch_execz .LBB14_5
; %bb.4:
	v_div_scale_f32 v7, s[8:9], v2, v2, v6
	v_rcp_f32_e32 v8, v7
	v_div_scale_f32 v9, vcc, v6, v2, v6
	s_brev_b32 s16, -2
	v_fma_f32 v10, -v7, v8, 1.0
	v_fmac_f32_e32 v8, v10, v8
	v_mul_f32_e32 v10, v9, v8
	v_fma_f32 v11, -v7, v10, v9
	v_fmac_f32_e32 v10, v11, v8
	v_fma_f32 v7, -v7, v10, v9
	v_div_fmas_f32 v7, v7, v8, v10
	v_div_fixup_f32 v6, v7, v2, v6
	v_trunc_f32_e32 v7, v6
	v_sub_f32_e32 v8, v6, v7
	v_cmp_ge_f32_e64 s[8:9], |v8|, 0.5
	s_nop 1
	v_cndmask_b32_e64 v8, 0, 1.0, s[8:9]
	v_div_scale_f32 v9, s[8:9], v2, v2, v0
	v_rcp_f32_e32 v10, v9
	v_bfi_b32 v6, s16, v8, v6
	v_add_f32_e32 v6, v7, v6
	v_cvt_i32_f32_e32 v6, v6
	v_fma_f32 v7, -v9, v10, 1.0
	v_fmac_f32_e32 v10, v7, v10
	v_div_scale_f32 v7, vcc, v0, v2, v0
	v_mul_f32_e32 v8, v7, v10
	v_fma_f32 v11, -v9, v8, v7
	v_fmac_f32_e32 v8, v11, v10
	v_div_scale_f32 v11, s[8:9], v2, v2, v1
	v_rcp_f32_e32 v12, v11
	v_fma_f32 v7, -v9, v8, v7
	v_div_fmas_f32 v7, v7, v10, v8
	v_div_fixup_f32 v0, v7, v2, v0
	v_fma_f32 v8, -v11, v12, 1.0
	v_fmac_f32_e32 v12, v8, v12
	v_div_scale_f32 v8, vcc, v1, v2, v1
	v_mul_f32_e32 v9, v8, v12
	v_fma_f32 v10, -v11, v9, v8
	v_fmac_f32_e32 v9, v10, v12
	v_div_scale_f32 v10, s[8:9], v2, v2, v5
	v_rcp_f32_e32 v13, v10
	v_fma_f32 v8, -v11, v9, v8
	v_div_fmas_f32 v8, v8, v12, v9
	v_div_fixup_f32 v1, v8, v2, v1
	v_fma_f32 v9, -v10, v13, 1.0
	v_fmac_f32_e32 v13, v9, v13
	v_div_scale_f32 v9, vcc, v5, v2, v5
	v_mul_f32_e32 v11, v9, v13
	v_fma_f32 v12, -v10, v11, v9
	v_fmac_f32_e32 v11, v12, v13
	v_fma_f32 v9, -v10, v11, v9
	v_div_fmas_f32 v9, v9, v13, v11
	v_div_fixup_f32 v5, v9, v2, v5
	v_trunc_f32_e32 v9, v5
	v_sub_f32_e32 v10, v5, v9
	v_trunc_f32_e32 v7, v1
	v_cmp_ge_f32_e64 s[8:9], |v10|, 0.5
	v_sub_f32_e32 v8, v1, v7
	s_nop 0
	v_cndmask_b32_e64 v10, 0, 1.0, s[8:9]
	v_cmp_ge_f32_e64 s[8:9], |v8|, 0.5
	v_bfi_b32 v5, s16, v10, v5
	v_add_f32_e32 v5, v9, v5
	v_cndmask_b32_e64 v8, 0, 1.0, s[8:9]
	v_bfi_b32 v1, s16, v8, v1
	v_add_f32_e32 v1, v7, v1
	v_trunc_f32_e32 v7, v0
	v_sub_f32_e32 v8, v0, v7
	v_cmp_ge_f32_e64 s[8:9], |v8|, 0.5
	v_cvt_i32_f32_e32 v5, v5
	v_cvt_i32_f32_e32 v1, v1
	v_cndmask_b32_e64 v8, 0, 1.0, s[8:9]
	v_bfi_b32 v0, s16, v8, v0
	v_add_f32_e32 v0, v7, v0
	v_cvt_i32_f32_e32 v0, v0
	v_and_b32_e32 v5, 0xff, v5
	v_lshlrev_b32_e32 v5, 16, v5
	v_mov_b32_e32 v7, 8
	v_lshlrev_b32_sdwa v1, v7, v1 dst_sel:DWORD dst_unused:UNUSED_PAD src0_sel:DWORD src1_sel:BYTE_0
	v_lshl_or_b32 v0, v0, 24, v5
	v_and_b32_e32 v5, 0xff, v6
	v_or3_b32 v7, v0, v1, v5
.LBB14_5:
	s_or_b64 exec, exec, s[6:7]
	v_and_b32_e32 v1, 7, v181
	v_lshlrev_b32_e32 v0, 2, v181
	v_cmp_eq_u32_e32 vcc, 0, v1
	ds_write_b32 v0, v7
	s_and_b64 exec, exec, vcc
	s_cbranch_execz .LBB14_7
; %bb.6:
	s_waitcnt lgkmcnt(1)
	v_add_f32_e32 v3, v3, v4
	ds_write_b64 v181, v[2:3] offset:128
.LBB14_7:
	s_or_b64 exec, exec, s[4:5]
	v_and_b32_e32 v43, 3, v181
	v_lshlrev_b32_e32 v24, 2, v43
	v_mov_b32_e32 v187, 0
	s_waitcnt lgkmcnt(0)
	s_barrier
	ds_read2_b32 v[26:27], v24 offset1:4
	ds_read2_b32 v[28:29], v24 offset0:8 offset1:12
	ds_read_b128 v[0:3], v187 offset:128
	ds_read_b128 v[4:7], v187 offset:144
	ds_read2_b32 v[30:31], v24 offset0:16 offset1:20
	ds_read2_b32 v[32:33], v24 offset0:24 offset1:28
	s_ashr_i32 s41, s40, 31
	s_ashr_i32 s4, s36, 31
	;; [unrolled: 1-line block ×3, first 2 shown]
	s_cmp_eq_u64 s[26:27], 0
	s_waitcnt lgkmcnt(0)
	s_barrier
	s_cbranch_scc1 .LBB14_9
; %bb.8:
	s_load_dword s5, s[0:1], 0xd0
	s_mov_b32 s9, 0
	s_waitcnt lgkmcnt(0)
	s_mul_i32 s5, s5, s33
	s_add_i32 s8, s5, s2
	s_lshl_b64 s[8:9], s[8:9], 2
	s_add_u32 s8, s26, s8
	s_addc_u32 s9, s27, s9
	s_load_dword s42, s[8:9], 0x0
.LBB14_9:
	v_lshlrev_b32_e32 v42, 5, v180
	v_add_u32_e32 v183, v42, v181
	s_lshl_b32 s16, s3, 7
	s_mov_b32 s27, 0
	s_waitcnt lgkmcnt(0)
	s_cmp_ge_i32 s16, s42
	v_lshlrev_b32_e32 v185, 1, v183
	v_lshlrev_b32_e32 v186, 2, v181
	s_cbranch_scc1 .LBB14_21
; %bb.10:
	s_load_dwordx4 s[36:39], s[0:1], 0x98
	s_load_dwordx2 s[52:53], s[0:1], 0x8c
	s_load_dwordx2 s[8:9], s[0:1], 0xc8
	s_xor_b32 s4, s41, s4
	s_mul_i32 s10, s10, s12
	s_waitcnt lgkmcnt(0)
	s_mul_i32 s7, s37, s33
	s_mul_i32 s37, s36, s6
	s_mul_hi_u32 s5, s36, s33
	s_add_i32 s37, s37, s7
	s_add_i32 s43, s37, s5
	s_mul_i32 s5, s11, s45
	s_sub_i32 s5, s46, s5
	s_add_i32 s7, s11, 1
	s_sub_i32 s17, s5, s45
	s_cmp_ge_u32 s5, s45
	s_cselect_b32 s7, s7, s11
	s_cselect_b32 s5, s17, s5
	s_add_i32 s11, s7, 1
	s_cmp_ge_u32 s5, s45
	s_cselect_b32 s5, s11, s7
	s_xor_b32 s5, s5, s4
	s_sub_i32 s4, s5, s4
	s_mul_i32 s50, s4, s53
	s_mul_i32 s54, s4, s39
	s_sub_i32 s4, s44, s10
	s_ashr_i32 s51, s50, 31
	s_ashr_i32 s55, s54, 31
	s_sub_i32 s5, s4, s12
	s_cmp_ge_u32 s4, s12
	s_cselect_b32 s4, s5, s4
	s_sub_i32 s5, s4, s12
	s_cmp_ge_u32 s4, s12
	s_cselect_b32 s4, s5, s4
	s_xor_b32 s4, s4, s6
	s_sub_i32 s7, s4, s6
	s_ashr_i32 s10, s7, 31
	s_load_dword s11, s[0:1], 0xd4
	s_load_dwordx2 s[4:5], s[0:1], 0xa8
	s_mul_i32 s10, s8, s10
	s_mul_hi_u32 s12, s8, s7
	s_add_i32 s10, s12, s10
	s_mul_i32 s9, s9, s7
	s_mul_i32 s26, s13, s2
	s_add_i32 s10, s10, s9
	s_ashr_i32 s39, s26, 31
	s_cmp_lg_u64 s[22:23], 0
	s_cselect_b64 s[44:45], -1, 0
	s_waitcnt lgkmcnt(0)
	s_lshl_b32 s46, s11, 7
	s_mov_b32 s17, s27
	s_add_u32 s12, s18, s50
	s_mul_i32 s7, s8, s7
	s_addc_u32 s13, s19, s51
	s_lshl_b64 s[8:9], s[16:17], 1
	s_add_u32 s7, s7, s8
	s_addc_u32 s8, s10, s9
	s_add_u32 s9, s22, s26
	v_bfe_u32 v8, v181, 3, 27
	v_mul_lo_u32 v10, v42, s38
	s_addc_u32 s10, s23, s39
	v_add_u32_e32 v14, s38, v10
	v_mov_b32_e32 v187, s33
	s_add_u32 s56, s9, s7
	v_mul_hi_u32_u24_e32 v9, 24, v8
	v_mul_u32_u24_e32 v8, 24, v8
	s_mul_i32 s5, s5, s33
	s_mul_i32 s6, s4, s6
	v_add_u32_e32 v18, s38, v14
	s_addc_u32 s57, s10, s8
	s_add_i32 s6, s6, s5
	v_mad_u64_u32 v[12:13], s[4:5], s4, v187, v[8:9]
	v_mov_b32_e32 v25, 0
	v_add_u32_e32 v22, s38, v18
	v_add_u32_e32 v13, s6, v13
	;; [unrolled: 1-line block ×3, first 2 shown]
	v_lshl_add_u64 v[16:17], v[12:13], 0, v[24:25]
	v_ashrrev_i32_e32 v45, 31, v44
	v_lshl_add_u64 v[38:39], v[12:13], 0, s[54:55]
	v_lshl_add_u64 v[40:41], v[16:17], 0, s[54:55]
	v_add_u32_e32 v46, s38, v44
	v_lshl_add_u64 v[58:59], v[38:39], 0, v[44:45]
	v_lshl_add_u64 v[62:63], v[40:41], 0, v[44:45]
	v_add_u32_e32 v44, 31, v42
	v_mul_lo_u32 v44, s38, v44
	v_ashrrev_i32_e32 v45, 31, v44
	v_lshl_add_u64 v[100:101], v[40:41], 0, v[44:45]
	v_lshl_add_u64 v[104:105], v[38:39], 0, v[44:45]
	v_add_u32_e32 v44, 30, v42
	v_mul_lo_u32 v44, s38, v44
	v_ashrrev_i32_e32 v45, 31, v44
	;; [unrolled: 5-line block ×5, first 2 shown]
	v_lshl_add_u64 v[124:125], v[40:41], 0, v[44:45]
	v_lshl_add_u64 v[128:129], v[38:39], 0, v[44:45]
	v_add_u32_e32 v44, 26, v42
	v_add_u32_e32 v48, s38, v46
	v_mul_lo_u32 v44, s38, v44
	v_add_u32_e32 v50, s38, v48
	v_ashrrev_i32_e32 v45, 31, v44
	v_add_u32_e32 v52, s38, v50
	v_lshl_add_u64 v[130:131], v[40:41], 0, v[44:45]
	v_lshl_add_u64 v[134:135], v[38:39], 0, v[44:45]
	v_add_u32_e32 v44, 25, v42
	v_add_u32_e32 v54, s38, v52
	v_mul_lo_u32 v44, s38, v44
	v_add_u32_e32 v56, s38, v54
	v_ashrrev_i32_e32 v45, 31, v44
	v_add_u32_e32 v60, s38, v56
	;; [unrolled: 8-line block ×3, first 2 shown]
	v_lshl_add_u64 v[142:143], v[40:41], 0, v[44:45]
	v_lshl_add_u64 v[146:147], v[38:39], 0, v[44:45]
	v_add_u32_e32 v44, 23, v42
	v_add_u32_e32 v96, s38, v82
	v_mul_lo_u32 v44, s38, v44
	v_add_u32_e32 v36, s38, v96
	v_ashrrev_i32_e32 v45, 31, v44
	v_ashrrev_i32_e32 v37, 31, v36
	v_lshl_add_u64 v[148:149], v[40:41], 0, v[44:45]
	v_lshl_add_u64 v[152:153], v[38:39], 0, v[44:45]
	v_add_u32_e32 v44, 22, v42
	v_add_u32_e32 v34, s38, v36
	v_mul_lo_u32 v44, s38, v44
	v_lshl_add_u64 v[150:151], v[38:39], 0, v[36:37]
	v_lshl_add_u64 v[156:157], v[40:41], 0, v[36:37]
	v_add_u32_e32 v36, 21, v42
	v_ashrrev_i32_e32 v35, 31, v34
	v_ashrrev_i32_e32 v45, 31, v44
	v_mul_lo_u32 v36, s38, v36
	v_lshl_add_u64 v[154:155], v[40:41], 0, v[44:45]
	v_lshl_add_u64 v[158:159], v[38:39], 0, v[44:45]
	v_ashrrev_i32_e32 v37, 31, v36
	v_add_u32_e32 v44, s38, v34
	v_lshl_add_u64 v[162:163], v[38:39], 0, v[34:35]
	v_lshl_add_u64 v[168:169], v[40:41], 0, v[34:35]
	v_add_u32_e32 v34, 19, v42
	v_lshl_add_u64 v[160:161], v[40:41], 0, v[36:37]
	v_lshl_add_u64 v[164:165], v[38:39], 0, v[36:37]
	v_add_u32_e32 v36, 20, v42
	v_mul_lo_u32 v34, s38, v34
	v_mul_lo_u32 v36, s38, v36
	v_ashrrev_i32_e32 v35, 31, v34
	v_ashrrev_i32_e32 v11, 31, v10
	;; [unrolled: 1-line block ×18, first 2 shown]
	v_lshl_add_u64 v[172:173], v[40:41], 0, v[34:35]
	v_lshl_add_u64 v[176:177], v[38:39], 0, v[34:35]
	v_mbcnt_hi_u32_b32 v34, -1, v182
	v_lshl_add_u64 v[8:9], v[12:13], 0, v[10:11]
	v_lshl_add_u64 v[10:11], v[16:17], 0, v[10:11]
	;; [unrolled: 1-line block ×18, first 2 shown]
	v_and_b32_e32 v39, 0x7c, v34
	v_lshl_add_u64 v[14:15], v[40:41], 0, v[14:15]
	v_lshl_add_u64 v[18:19], v[40:41], 0, v[18:19]
	;; [unrolled: 1-line block ×16, first 2 shown]
	v_add_u32_e32 v39, 4, v39
	v_xor_b32_e32 v41, 2, v34
	v_and_b32_e32 v35, 0x60, v34
	v_xor_b32_e32 v40, 1, v34
	v_cmp_lt_i32_e32 vcc, v41, v39
	v_add_u32_e32 v35, 32, v35
	v_xor_b32_e32 v36, 4, v34
	v_cndmask_b32_e32 v41, v34, v41, vcc
	v_cmp_lt_i32_e32 vcc, v40, v39
	v_xor_b32_e32 v37, 8, v34
	v_xor_b32_e32 v38, 16, v34
	v_cndmask_b32_e32 v39, v34, v40, vcc
	v_cmp_lt_i32_e32 vcc, v36, v35
	s_mul_i32 s22, s52, s16
	s_mul_i32 s48, s46, s52
	v_cndmask_b32_e32 v36, v34, v36, vcc
	v_cmp_lt_i32_e32 vcc, v37, v35
	s_mov_b32 s47, s27
	s_mul_i32 s17, s36, s33
	v_cndmask_b32_e32 v37, v34, v37, vcc
	v_cmp_lt_i32_e32 vcc, v38, v35
	v_and_b32_e32 v35, 0x7c, v181
	v_lshlrev_b32_e32 v189, 2, v39
	v_cndmask_b32_e32 v34, v34, v38, vcc
	v_add_u32_e32 v38, v42, v35
	v_mul_lo_u32 v96, v38, s52
	v_add_u32_e32 v78, s52, v96
	v_add_u32_e32 v60, s52, v78
	;; [unrolled: 1-line block ×3, first 2 shown]
	v_mad_u64_u32 v[82:83], s[52:53], s36, v187, v[24:25]
	v_add_u32_e32 v83, s37, v83
	s_lshl_b64 s[36:37], s[46:47], 1
	s_add_u32 s52, s20, s54
	s_addc_u32 s53, s21, s55
	v_lshl_add_u64 v[8:9], s[52:53], 0, v[8:9]
	v_ashrrev_i32_e32 v61, 31, v60
	v_lshlrev_b32_e32 v190, 2, v36
	v_lshlrev_b32_e32 v36, 1, v38
	v_lshl_add_u64 v[38:39], v[8:9], 0, 4
	v_lshl_add_u64 v[8:9], s[52:53], 0, v[10:11]
	v_lshlrev_b32_e32 v188, 2, v41
	v_lshl_add_u64 v[40:41], v[8:9], 0, 8
	v_lshl_add_u64 v[8:9], v[82:83], 0, v[60:61]
	;; [unrolled: 1-line block ×8, first 2 shown]
	v_ashrrev_i32_e32 v79, 31, v78
	v_lshl_add_u64 v[56:57], v[8:9], 0, 8
	v_lshl_add_u64 v[8:9], s[20:21], 0, v[62:63]
	;; [unrolled: 1-line block ×8, first 2 shown]
	v_ashrrev_i32_e32 v45, 31, v44
	s_add_u32 s52, s12, s17
	v_lshl_add_u64 v[72:73], v[8:9], 0, 8
	v_lshl_add_u64 v[8:9], s[20:21], 0, v[76:77]
	v_ashrrev_i32_e32 v97, 31, v96
	v_lshlrev_b32_e32 v192, 2, v34
	v_lshl_add_u64 v[34:35], v[82:83], 0, v[44:45]
	s_addc_u32 s53, s13, s43
	v_lshl_add_u64 v[76:77], v[8:9], 0, 8
	v_lshl_add_u64 v[8:9], v[82:83], 0, s[50:51]
	;; [unrolled: 1-line block ×4, first 2 shown]
	s_add_u32 s12, s17, s50
	v_lshl_add_u64 v[82:83], s[18:19], 0, v[8:9]
	v_lshl_add_u64 v[8:9], s[20:21], 0, v[84:85]
	s_addc_u32 s13, s43, s51
	v_lshl_add_u64 v[84:85], v[8:9], 0, 8
	v_lshl_add_u64 v[8:9], s[20:21], 0, v[88:89]
	s_add_u32 s12, s18, s12
	v_lshl_add_u64 v[88:89], v[8:9], 0, 8
	v_lshl_add_u64 v[8:9], s[20:21], 0, v[92:93]
	s_addc_u32 s13, s19, s13
	v_lshl_add_u64 v[92:93], v[8:9], 0, 8
	v_lshl_add_u64 v[8:9], s[12:13], 0, v[96:97]
	s_mov_b64 s[12:13], 0x4c
	v_lshl_add_u64 v[96:97], v[8:9], 0, s[12:13]
	v_lshl_add_u64 v[8:9], s[20:21], 0, v[98:99]
	;; [unrolled: 1-line block ×64, first 2 shown]
	v_lshlrev_b32_e32 v191, 2, v37
	v_mov_b32_e32 v37, v25
	v_lshl_add_u64 v[172:173], v[8:9], 0, 8
	v_lshl_add_u64 v[8:9], s[20:21], 0, v[176:177]
	;; [unrolled: 1-line block ×5, first 2 shown]
	v_and_b32_e32 v195, 28, v186
	v_cmp_eq_u32_e64 s[4:5], 3, v43
	v_cmp_eq_u32_e64 s[6:7], 0, v43
	;; [unrolled: 1-line block ×4, first 2 shown]
	s_mul_i32 s26, s38, s16
	s_mov_b32 s23, s27
	s_mov_b32 s49, s27
	s_mul_i32 s38, s46, s38
	s_mov_b32 s39, s27
	v_lshlrev_b32_e32 v193, 1, v42
	v_lshl_add_u64 v[36:37], v[36:37], 0, 6
	v_lshl_add_u64 v[42:43], s[52:53], 0, v[44:45]
	;; [unrolled: 1-line block ×23, first 2 shown]
	s_movk_i32 s17, 0x1000
	s_mov_b32 s18, 0x3fb8aa3b
	s_mov_b32 s19, 0xc2ce8ed0
	s_mov_b32 s20, 0x42b17218
	s_mov_b32 s21, 0x10001
	v_or_b32_e32 v194, 16, v24
	v_and_b32_e32 v196, 4, v181
	v_or_b32_e32 v197, 1, v195
	v_or_b32_e32 v198, 2, v195
	;; [unrolled: 1-line block ×3, first 2 shown]
	v_mov_b32_e32 v9, 0xfeffffff
	v_mov_b32_e32 v200, 0x7f800000
	;; [unrolled: 1-line block ×5, first 2 shown]
                                        ; implicit-def: $vgpr202
.LBB14_11:                              ; =>This Inner Loop Header: Depth=1
	v_lshl_add_u64 v[12:13], v[82:83], 0, s[22:23]
	v_lshl_add_u64 v[10:11], v[96:97], 0, s[22:23]
	global_load_dword v20, v[12:13], off offset:8
	global_load_dwordx2 v[14:15], v[10:11], off offset:-76
	global_load_dword v21, v[12:13], off offset:32
	global_load_dwordx2 v[16:17], v[10:11], off offset:-52
	;; [unrolled: 2-line block ×3, first 2 shown]
	global_load_dword v206, v[12:13], off offset:80
	s_nop 0
	global_load_dwordx2 v[10:11], v[10:11], off offset:-4
	v_mov_b32_e32 v22, 0
	v_mov_b32_e32 v203, 0
	;; [unrolled: 1-line block ×4, first 2 shown]
	s_and_b64 vcc, exec, s[44:45]
	s_waitcnt vmcnt(7)
	v_and_b32_e32 v12, 0xf0f0f0f, v20
	s_waitcnt vmcnt(6)
	v_ashrrev_i32_e32 v13, v24, v15
	v_ashrrev_i32_e32 v15, v194, v15
	v_lshrrev_b32_e32 v20, 4, v20
	s_waitcnt vmcnt(4)
	v_ashrrev_i32_e32 v209, v24, v17
	v_cvt_f32_f16_e32 v210, v16
	v_cvt_f32_f16_sdwa v16, v16 dst_sel:DWORD dst_unused:UNUSED_PAD src0_sel:WORD_1
	v_ashrrev_i32_e32 v17, v194, v17
	v_lshlrev_b32_e32 v213, 4, v13
	v_lshlrev_b32_e32 v214, 11, v13
	;; [unrolled: 1-line block ×8, first 2 shown]
	v_and_b32_e32 v208, 0xf0f0f0f, v21
	v_lshrrev_b32_e32 v21, 4, v21
	v_and_b32_e32 v20, 0xf0f0f0f, v20
	v_lshlrev_b32_e32 v222, 4, v17
	v_lshlrev_b32_e32 v223, 11, v17
	;; [unrolled: 1-line block ×4, first 2 shown]
	v_and_b32_e32 v215, 0x100000, v215
	v_and_b32_e32 v13, 0x10000000, v13
	;; [unrolled: 1-line block ×4, first 2 shown]
	v_lshlrev_b32_e32 v219, 4, v209
	v_lshlrev_b32_e32 v220, 11, v209
	v_lshlrev_b32_e32 v221, 18, v209
	v_lshlrev_b32_e32 v209, 25, v209
	v_and_b32_e32 v21, 0xf0f0f0f, v21
	v_and_b32_e32 v213, 16, v213
	;; [unrolled: 1-line block ×7, first 2 shown]
	v_or3_b32 v12, v13, v12, v215
	v_or3_b32 v13, v15, v20, v218
	v_cvt_f32_f16_e32 v207, v14
	v_cvt_f32_f16_sdwa v14, v14 dst_sel:DWORD dst_unused:UNUSED_PAD src0_sel:WORD_1
	v_and_b32_e32 v221, 0x100000, v221
	v_and_b32_e32 v209, 0x10000000, v209
	;; [unrolled: 1-line block ×4, first 2 shown]
	v_or3_b32 v17, v17, v21, v224
	v_or3_b32 v20, v12, v213, v214
	;; [unrolled: 1-line block ×3, first 2 shown]
	v_and_b32_e32 v219, 16, v219
	v_and_b32_e32 v220, 0x1000, v220
	v_or3_b32 v15, v209, v208, v221
	v_mul_f32_e32 v208, v3, v16
	v_or3_b32 v16, v17, v222, v223
	v_dot4c_i32_i8_e32 v22, v20, v26
	v_dot4c_i32_i8_e32 v203, v13, v27
	v_or3_b32 v15, v15, v219, v220
	v_dot4c_i32_i8_e32 v205, v16, v29
	v_cvt_f32_i32_e32 v17, v22
	v_cvt_f32_i32_e32 v16, v203
	v_dot4c_i32_i8_e32 v204, v15, v28
	v_mul_f32_e32 v12, v0, v207
	v_mul_f32_e32 v207, v1, v14
	v_cvt_f32_i32_e32 v20, v205
	v_cvt_f32_i32_e32 v21, v204
	v_mul_f32_e32 v22, 0x3e000000, v207
	s_waitcnt vmcnt(3)
	v_pk_fma_f32 v[12:13], v[12:13], v[16:17], v[22:23] op_sel_hi:[0,1,0]
	v_mul_f32_e32 v14, v2, v210
	v_mul_f32_e32 v204, 0x3e000000, v208
	v_add_f32_e32 v13, 0, v13
	v_pk_fma_f32 v[14:15], v[14:15], v[20:21], v[204:205] op_sel_hi:[0,1,0]
	v_add_f32_e32 v12, v12, v13
	s_waitcnt vmcnt(2)
	v_ashrrev_i32_e32 v212, v24, v19
	v_add_f32_e32 v12, v12, v15
	v_lshlrev_b32_e32 v227, 18, v212
	v_add_f32_e32 v15, v14, v12
	v_lshlrev_b32_e32 v12, 25, v212
	v_and_b32_e32 v211, 0xf0f0f0f, v23
	v_lshlrev_b32_e32 v225, 4, v212
	v_lshlrev_b32_e32 v226, 11, v212
	v_and_b32_e32 v227, 0x100000, v227
	v_and_b32_e32 v12, 0x10000000, v12
	v_and_b32_e32 v225, 16, v225
	v_and_b32_e32 v226, 0x1000, v226
	v_or3_b32 v12, v12, v211, v227
	v_or3_b32 v12, v12, v225, v226
	v_mov_b32_e32 v13, 0
	v_ashrrev_i32_e32 v17, v194, v19
	v_dot4c_i32_i8_e32 v13, v12, v30
	v_cvt_f32_f16_e32 v14, v18
	v_cvt_f32_f16_sdwa v16, v18 dst_sel:DWORD dst_unused:UNUSED_PAD src0_sel:WORD_1
	v_lshrrev_b32_e32 v12, 4, v23
	v_lshlrev_b32_e32 v18, 4, v17
	v_lshlrev_b32_e32 v19, 11, v17
	;; [unrolled: 1-line block ×4, first 2 shown]
	v_and_b32_e32 v12, 0xf0f0f0f, v12
	v_and_b32_e32 v20, 0x100000, v20
	;; [unrolled: 1-line block ×5, first 2 shown]
	v_or3_b32 v12, v17, v12, v20
	v_or3_b32 v12, v12, v18, v19
	v_mov_b32_e32 v17, 0
	v_dot4c_i32_i8_e32 v17, v12, v31
	v_cvt_f32_i32_e32 v13, v13
	v_mul_f32_e32 v16, v5, v16
	v_mul_f32_e32 v14, v4, v14
	v_cvt_f32_i32_e32 v12, v17
	v_mul_f32_e32 v16, 0x3e000000, v16
	v_pk_fma_f32 v[12:13], v[14:15], v[12:13], v[16:17] op_sel_hi:[0,1,0]
	s_waitcnt vmcnt(0)
	v_ashrrev_i32_e32 v14, v24, v11
	v_add_f32_e32 v13, v15, v13
	v_lshlrev_b32_e32 v15, 4, v14
	v_lshlrev_b32_e32 v16, 11, v14
	;; [unrolled: 1-line block ×4, first 2 shown]
	v_add_f32_e32 v13, v12, v13
	v_and_b32_e32 v12, 0xf0f0f0f, v206
	v_and_b32_e32 v17, 0x100000, v17
	;; [unrolled: 1-line block ×5, first 2 shown]
	v_or3_b32 v12, v14, v12, v17
	v_or3_b32 v12, v12, v15, v16
	v_mov_b32_e32 v14, 0
	v_ashrrev_i32_e32 v11, v194, v11
	v_dot4c_i32_i8_e32 v14, v12, v32
	v_cvt_f32_f16_e32 v12, v10
	v_cvt_f32_f16_sdwa v15, v10 dst_sel:DWORD dst_unused:UNUSED_PAD src0_sel:WORD_1
	v_lshrrev_b32_e32 v10, 4, v206
	v_lshlrev_b32_e32 v16, 4, v11
	v_lshlrev_b32_e32 v17, 11, v11
	;; [unrolled: 1-line block ×4, first 2 shown]
	v_and_b32_e32 v10, 0xf0f0f0f, v10
	v_and_b32_e32 v18, 0x100000, v18
	;; [unrolled: 1-line block ×5, first 2 shown]
	v_or3_b32 v10, v11, v10, v18
	v_or3_b32 v10, v10, v16, v17
	v_mov_b32_e32 v16, 0
	v_dot4c_i32_i8_e32 v16, v10, v33
	v_cvt_f32_i32_e32 v11, v14
	v_mul_f32_e32 v14, v7, v15
	v_mul_f32_e32 v12, v6, v12
	v_cvt_f32_i32_e32 v10, v16
	v_mul_f32_e32 v14, 0x3e000000, v14
	v_pk_fma_f32 v[10:11], v[12:13], v[10:11], v[14:15] op_sel_hi:[0,1,0]
	v_add_f32_e32 v11, v13, v11
	v_add_f32_e32 v10, v10, v11
	ds_bpermute_b32 v11, v188, v10
	s_waitcnt lgkmcnt(0)
	v_add_f32_e32 v10, v10, v11
	ds_bpermute_b32 v11, v189, v10
	s_waitcnt lgkmcnt(0)
	v_add_f32_e32 v10, v10, v11
	s_cbranch_vccz .LBB14_13
; %bb.12:                               ;   in Loop: Header=BB14_11 Depth=1
	global_load_ushort v11, v[36:37], off offset:-6
	s_waitcnt vmcnt(0)
	v_fma_mix_f32 v10, v184, v11, v10 op_sel_hi:[0,1,0]
.LBB14_13:                              ;   in Loop: Header=BB14_11 Depth=1
	v_lshl_add_u64 v[14:15], v[64:65], 0, s[22:23]
	v_lshl_add_u64 v[12:13], v[78:79], 0, s[22:23]
	global_load_dword v11, v[14:15], off offset:8
	global_load_dwordx2 v[16:17], v[12:13], off
	global_load_dword v22, v[14:15], off offset:32
	global_load_dwordx2 v[18:19], v[12:13], off offset:24
	global_load_dword v203, v[14:15], off offset:56
	global_load_dwordx2 v[20:21], v[12:13], off offset:48
	global_load_dword v207, v[14:15], off offset:80
	s_nop 0
	global_load_dwordx2 v[12:13], v[12:13], off offset:72
	v_mov_b32_e32 v23, 0
	v_mov_b32_e32 v204, 0
	;; [unrolled: 1-line block ×4, first 2 shown]
	s_andn2_b64 vcc, exec, s[44:45]
	s_waitcnt vmcnt(7)
	v_and_b32_e32 v14, 0xf0f0f0f, v11
	s_waitcnt vmcnt(6)
	v_ashrrev_i32_e32 v15, v24, v17
	v_ashrrev_i32_e32 v17, v194, v17
	v_lshrrev_b32_e32 v11, 4, v11
	s_waitcnt vmcnt(4)
	v_ashrrev_i32_e32 v210, v24, v19
	v_ashrrev_i32_e32 v19, v194, v19
	v_lshlrev_b32_e32 v214, 4, v15
	v_lshlrev_b32_e32 v215, 11, v15
	;; [unrolled: 1-line block ×8, first 2 shown]
	v_and_b32_e32 v209, 0xf0f0f0f, v22
	v_cvt_f32_f16_e32 v211, v18
	v_cvt_f32_f16_sdwa v18, v18 dst_sel:DWORD dst_unused:UNUSED_PAD src0_sel:WORD_1
	v_lshrrev_b32_e32 v22, 4, v22
	v_and_b32_e32 v11, 0xf0f0f0f, v11
	v_lshlrev_b32_e32 v223, 4, v19
	v_lshlrev_b32_e32 v224, 11, v19
	;; [unrolled: 1-line block ×4, first 2 shown]
	v_and_b32_e32 v216, 0x100000, v216
	v_and_b32_e32 v15, 0x10000000, v15
	v_and_b32_e32 v219, 0x100000, v219
	v_and_b32_e32 v17, 0x10000000, v17
	v_and_b32_e32 v22, 0xf0f0f0f, v22
	v_and_b32_e32 v214, 16, v214
	v_and_b32_e32 v215, 0x1000, v215
	v_and_b32_e32 v217, 16, v217
	v_and_b32_e32 v218, 0x1000, v218
	v_and_b32_e32 v225, 0x100000, v225
	v_and_b32_e32 v19, 0x10000000, v19
	v_or3_b32 v14, v15, v14, v216
	v_or3_b32 v11, v17, v11, v219
	v_cvt_f32_f16_e32 v208, v16
	v_cvt_f32_f16_sdwa v16, v16 dst_sel:DWORD dst_unused:UNUSED_PAD src0_sel:WORD_1
	v_lshlrev_b32_e32 v220, 4, v210
	v_lshlrev_b32_e32 v221, 11, v210
	;; [unrolled: 1-line block ×4, first 2 shown]
	v_or3_b32 v17, v19, v22, v225
	v_or3_b32 v19, v14, v214, v215
	;; [unrolled: 1-line block ×3, first 2 shown]
	v_and_b32_e32 v222, 0x100000, v222
	v_and_b32_e32 v210, 0x10000000, v210
	v_dot4c_i32_i8_e32 v23, v19, v26
	v_dot4c_i32_i8_e32 v204, v11, v27
	v_or3_b32 v15, v210, v209, v222
	v_mul_f32_e32 v209, v3, v18
	v_cvt_f32_i32_e32 v19, v23
	v_cvt_f32_i32_e32 v18, v204
	v_and_b32_e32 v220, 16, v220
	v_and_b32_e32 v221, 0x1000, v221
	;; [unrolled: 1-line block ×4, first 2 shown]
	v_mul_f32_e32 v14, v0, v208
	v_mul_f32_e32 v208, v1, v16
	v_or3_b32 v15, v15, v220, v221
	v_or3_b32 v17, v17, v223, v224
	v_dot4c_i32_i8_e32 v205, v15, v28
	v_dot4c_i32_i8_e32 v206, v17, v29
	v_mul_f32_e32 v204, 0x3e000000, v208
	s_waitcnt vmcnt(2)
	v_ashrrev_i32_e32 v213, v24, v21
	v_cvt_f32_i32_e32 v23, v205
	v_cvt_f32_i32_e32 v22, v206
	v_pk_fma_f32 v[14:15], v[14:15], v[18:19], v[204:205] op_sel_hi:[0,1,0]
	v_add_f32_e32 v11, 0, v15
	v_lshlrev_b32_e32 v228, 18, v213
	v_add_f32_e32 v11, v14, v11
	v_lshlrev_b32_e32 v14, 25, v213
	v_and_b32_e32 v212, 0xf0f0f0f, v203
	v_lshlrev_b32_e32 v226, 4, v213
	v_lshlrev_b32_e32 v227, 11, v213
	v_and_b32_e32 v228, 0x100000, v228
	v_mul_f32_e32 v16, v2, v211
	v_mul_f32_e32 v206, 0x3e000000, v209
	v_and_b32_e32 v14, 0x10000000, v14
	v_and_b32_e32 v226, 16, v226
	;; [unrolled: 1-line block ×3, first 2 shown]
	s_waitcnt vmcnt(1)
	v_pk_fma_f32 v[16:17], v[16:17], v[22:23], v[206:207] op_sel_hi:[0,1,0]
	v_or3_b32 v14, v14, v212, v228
	v_add_f32_e32 v11, v11, v17
	v_or3_b32 v14, v14, v226, v227
	v_mov_b32_e32 v15, 0
	v_ashrrev_i32_e32 v18, v194, v21
	v_add_f32_e32 v11, v16, v11
	v_dot4c_i32_i8_e32 v15, v14, v30
	v_cvt_f32_f16_e32 v16, v20
	v_cvt_f32_f16_sdwa v17, v20 dst_sel:DWORD dst_unused:UNUSED_PAD src0_sel:WORD_1
	v_lshrrev_b32_e32 v14, 4, v203
	v_lshlrev_b32_e32 v19, 4, v18
	v_lshlrev_b32_e32 v20, 11, v18
	;; [unrolled: 1-line block ×4, first 2 shown]
	v_and_b32_e32 v14, 0xf0f0f0f, v14
	v_and_b32_e32 v21, 0x100000, v21
	;; [unrolled: 1-line block ×5, first 2 shown]
	v_or3_b32 v14, v18, v14, v21
	v_or3_b32 v14, v14, v19, v20
	v_mov_b32_e32 v18, 0
	v_dot4c_i32_i8_e32 v18, v14, v31
	v_cvt_f32_i32_e32 v15, v15
	v_mul_f32_e32 v17, v5, v17
	v_mul_f32_e32 v16, v4, v16
	v_cvt_f32_i32_e32 v14, v18
	v_mul_f32_e32 v18, 0x3e000000, v17
	v_pk_fma_f32 v[14:15], v[16:17], v[14:15], v[18:19] op_sel_hi:[0,1,0]
	v_add_f32_e32 v11, v11, v15
	s_waitcnt vmcnt(0)
	v_ashrrev_i32_e32 v15, v24, v13
	v_lshlrev_b32_e32 v16, 4, v15
	v_lshlrev_b32_e32 v17, 11, v15
	;; [unrolled: 1-line block ×4, first 2 shown]
	v_add_f32_e32 v11, v14, v11
	v_and_b32_e32 v14, 0xf0f0f0f, v207
	v_and_b32_e32 v18, 0x100000, v18
	;; [unrolled: 1-line block ×5, first 2 shown]
	v_or3_b32 v14, v15, v14, v18
	v_or3_b32 v14, v14, v16, v17
	v_mov_b32_e32 v15, 0
	v_ashrrev_i32_e32 v13, v194, v13
	v_dot4c_i32_i8_e32 v15, v14, v32
	v_cvt_f32_f16_e32 v14, v12
	v_cvt_f32_f16_sdwa v16, v12 dst_sel:DWORD dst_unused:UNUSED_PAD src0_sel:WORD_1
	v_lshrrev_b32_e32 v12, 4, v207
	v_lshlrev_b32_e32 v17, 4, v13
	v_lshlrev_b32_e32 v18, 11, v13
	;; [unrolled: 1-line block ×4, first 2 shown]
	v_and_b32_e32 v12, 0xf0f0f0f, v12
	v_and_b32_e32 v19, 0x100000, v19
	;; [unrolled: 1-line block ×5, first 2 shown]
	v_or3_b32 v12, v13, v12, v19
	v_or3_b32 v12, v12, v17, v18
	v_mov_b32_e32 v17, 0
	v_dot4c_i32_i8_e32 v17, v12, v33
	v_cvt_f32_i32_e32 v13, v15
	v_mul_f32_e32 v15, v7, v16
	v_mul_f32_e32 v14, v6, v14
	v_cvt_f32_i32_e32 v12, v17
	v_mul_f32_e32 v16, 0x3e000000, v15
	v_pk_fma_f32 v[12:13], v[14:15], v[12:13], v[16:17] op_sel_hi:[0,1,0]
	v_add_f32_e32 v11, v11, v13
	v_add_f32_e32 v11, v12, v11
	ds_bpermute_b32 v12, v188, v11
	v_cndmask_b32_e64 v13, 0, 1, s[44:45]
	v_cmp_ne_u32_e64 s[12:13], 1, v13
	s_waitcnt lgkmcnt(0)
	v_add_f32_e32 v11, v11, v12
	ds_bpermute_b32 v12, v189, v11
	s_waitcnt lgkmcnt(0)
	v_add_f32_e32 v11, v11, v12
	s_cbranch_vccnz .LBB14_15
; %bb.14:                               ;   in Loop: Header=BB14_11 Depth=1
	global_load_ushort v12, v[36:37], off offset:-4
	s_waitcnt vmcnt(0)
	v_fma_mix_f32 v11, v184, v12, v11 op_sel_hi:[0,1,0]
.LBB14_15:                              ;   in Loop: Header=BB14_11 Depth=1
	v_lshl_add_u64 v[14:15], v[46:47], 0, s[22:23]
	v_lshl_add_u64 v[12:13], v[60:61], 0, s[22:23]
	global_load_dword v22, v[14:15], off offset:8
	global_load_dwordx2 v[16:17], v[12:13], off
	global_load_dword v23, v[14:15], off offset:32
	global_load_dwordx2 v[18:19], v[12:13], off offset:24
	global_load_dword v203, v[14:15], off offset:56
	global_load_dwordx2 v[20:21], v[12:13], off offset:48
	global_load_dword v208, v[14:15], off offset:80
	s_nop 0
	global_load_dwordx2 v[12:13], v[12:13], off offset:72
	v_mov_b32_e32 v204, 0
	v_mov_b32_e32 v205, 0
	;; [unrolled: 1-line block ×4, first 2 shown]
	s_and_b64 vcc, exec, s[12:13]
	s_waitcnt vmcnt(7)
	v_and_b32_e32 v14, 0xf0f0f0f, v22
	s_waitcnt vmcnt(6)
	v_ashrrev_i32_e32 v15, v24, v17
	v_ashrrev_i32_e32 v17, v194, v17
	v_lshrrev_b32_e32 v22, 4, v22
	s_waitcnt vmcnt(4)
	v_ashrrev_i32_e32 v211, v24, v19
	v_cvt_f32_f16_e32 v212, v18
	v_cvt_f32_f16_sdwa v18, v18 dst_sel:DWORD dst_unused:UNUSED_PAD src0_sel:WORD_1
	v_ashrrev_i32_e32 v19, v194, v19
	v_lshlrev_b32_e32 v215, 4, v15
	v_lshlrev_b32_e32 v216, 11, v15
	;; [unrolled: 1-line block ×8, first 2 shown]
	v_and_b32_e32 v210, 0xf0f0f0f, v23
	v_lshrrev_b32_e32 v23, 4, v23
	v_and_b32_e32 v22, 0xf0f0f0f, v22
	v_lshlrev_b32_e32 v224, 4, v19
	v_lshlrev_b32_e32 v225, 11, v19
	;; [unrolled: 1-line block ×4, first 2 shown]
	v_and_b32_e32 v217, 0x100000, v217
	v_and_b32_e32 v15, 0x10000000, v15
	;; [unrolled: 1-line block ×4, first 2 shown]
	v_lshlrev_b32_e32 v221, 4, v211
	v_lshlrev_b32_e32 v222, 11, v211
	;; [unrolled: 1-line block ×4, first 2 shown]
	v_and_b32_e32 v23, 0xf0f0f0f, v23
	v_and_b32_e32 v215, 16, v215
	;; [unrolled: 1-line block ×7, first 2 shown]
	v_or3_b32 v14, v15, v14, v217
	v_or3_b32 v15, v17, v22, v220
	v_cvt_f32_f16_e32 v209, v16
	v_cvt_f32_f16_sdwa v16, v16 dst_sel:DWORD dst_unused:UNUSED_PAD src0_sel:WORD_1
	v_and_b32_e32 v223, 0x100000, v223
	v_and_b32_e32 v211, 0x10000000, v211
	;; [unrolled: 1-line block ×4, first 2 shown]
	v_or3_b32 v19, v19, v23, v226
	v_or3_b32 v22, v14, v215, v216
	;; [unrolled: 1-line block ×3, first 2 shown]
	v_and_b32_e32 v221, 16, v221
	v_and_b32_e32 v222, 0x1000, v222
	v_or3_b32 v17, v211, v210, v223
	v_mul_f32_e32 v210, v3, v18
	v_or3_b32 v18, v19, v224, v225
	v_dot4c_i32_i8_e32 v204, v22, v26
	v_dot4c_i32_i8_e32 v205, v15, v27
	v_or3_b32 v17, v17, v221, v222
	v_dot4c_i32_i8_e32 v207, v18, v29
	v_cvt_f32_i32_e32 v19, v204
	v_cvt_f32_i32_e32 v18, v205
	v_dot4c_i32_i8_e32 v206, v17, v28
	v_mul_f32_e32 v14, v0, v209
	v_mul_f32_e32 v209, v1, v16
	v_cvt_f32_i32_e32 v22, v207
	v_cvt_f32_i32_e32 v23, v206
	v_mul_f32_e32 v204, 0x3e000000, v209
	v_pk_fma_f32 v[14:15], v[14:15], v[18:19], v[204:205] op_sel_hi:[0,1,0]
	v_mul_f32_e32 v16, v2, v212
	v_mul_f32_e32 v206, 0x3e000000, v210
	v_add_f32_e32 v15, 0, v15
	v_pk_fma_f32 v[16:17], v[16:17], v[22:23], v[206:207] op_sel_hi:[0,1,0]
	v_add_f32_e32 v14, v14, v15
	s_waitcnt vmcnt(2)
	v_ashrrev_i32_e32 v214, v24, v21
	v_add_f32_e32 v14, v14, v17
	v_lshlrev_b32_e32 v229, 18, v214
	v_add_f32_e32 v17, v16, v14
	v_lshlrev_b32_e32 v14, 25, v214
	v_and_b32_e32 v213, 0xf0f0f0f, v203
	v_lshlrev_b32_e32 v227, 4, v214
	v_lshlrev_b32_e32 v228, 11, v214
	v_and_b32_e32 v229, 0x100000, v229
	v_and_b32_e32 v14, 0x10000000, v14
	;; [unrolled: 1-line block ×4, first 2 shown]
	v_or3_b32 v14, v14, v213, v229
	v_or3_b32 v14, v14, v227, v228
	v_mov_b32_e32 v15, 0
	v_ashrrev_i32_e32 v19, v194, v21
	v_dot4c_i32_i8_e32 v15, v14, v30
	v_cvt_f32_f16_e32 v16, v20
	v_cvt_f32_f16_sdwa v18, v20 dst_sel:DWORD dst_unused:UNUSED_PAD src0_sel:WORD_1
	v_lshrrev_b32_e32 v14, 4, v203
	v_lshlrev_b32_e32 v20, 4, v19
	v_lshlrev_b32_e32 v21, 11, v19
	;; [unrolled: 1-line block ×4, first 2 shown]
	v_and_b32_e32 v14, 0xf0f0f0f, v14
	v_and_b32_e32 v22, 0x100000, v22
	;; [unrolled: 1-line block ×5, first 2 shown]
	v_or3_b32 v14, v19, v14, v22
	v_or3_b32 v14, v14, v20, v21
	v_mov_b32_e32 v19, 0
	v_dot4c_i32_i8_e32 v19, v14, v31
	v_cvt_f32_i32_e32 v15, v15
	v_mul_f32_e32 v18, v5, v18
	v_mul_f32_e32 v16, v4, v16
	v_cvt_f32_i32_e32 v14, v19
	v_mul_f32_e32 v18, 0x3e000000, v18
	v_pk_fma_f32 v[14:15], v[16:17], v[14:15], v[18:19] op_sel_hi:[0,1,0]
	s_waitcnt vmcnt(0)
	v_ashrrev_i32_e32 v16, v24, v13
	v_add_f32_e32 v15, v17, v15
	v_lshlrev_b32_e32 v17, 4, v16
	v_lshlrev_b32_e32 v18, 11, v16
	;; [unrolled: 1-line block ×4, first 2 shown]
	v_add_f32_e32 v15, v14, v15
	v_and_b32_e32 v14, 0xf0f0f0f, v208
	v_and_b32_e32 v19, 0x100000, v19
	v_and_b32_e32 v16, 0x10000000, v16
	v_and_b32_e32 v17, 16, v17
	v_and_b32_e32 v18, 0x1000, v18
	v_or3_b32 v14, v16, v14, v19
	v_or3_b32 v14, v14, v17, v18
	v_mov_b32_e32 v16, 0
	v_ashrrev_i32_e32 v13, v194, v13
	v_dot4c_i32_i8_e32 v16, v14, v32
	v_cvt_f32_f16_e32 v14, v12
	v_cvt_f32_f16_sdwa v17, v12 dst_sel:DWORD dst_unused:UNUSED_PAD src0_sel:WORD_1
	v_lshrrev_b32_e32 v12, 4, v208
	v_lshlrev_b32_e32 v18, 4, v13
	v_lshlrev_b32_e32 v19, 11, v13
	;; [unrolled: 1-line block ×4, first 2 shown]
	v_and_b32_e32 v12, 0xf0f0f0f, v12
	v_and_b32_e32 v20, 0x100000, v20
	;; [unrolled: 1-line block ×5, first 2 shown]
	v_or3_b32 v12, v13, v12, v20
	v_or3_b32 v12, v12, v18, v19
	v_mov_b32_e32 v18, 0
	v_dot4c_i32_i8_e32 v18, v12, v33
	v_cvt_f32_i32_e32 v13, v16
	v_mul_f32_e32 v16, v7, v17
	v_mul_f32_e32 v14, v6, v14
	v_cvt_f32_i32_e32 v12, v18
	v_mul_f32_e32 v16, 0x3e000000, v16
	v_pk_fma_f32 v[12:13], v[14:15], v[12:13], v[16:17] op_sel_hi:[0,1,0]
	v_add_f32_e32 v13, v15, v13
	v_add_f32_e32 v12, v12, v13
	ds_bpermute_b32 v13, v188, v12
	s_waitcnt lgkmcnt(0)
	v_add_f32_e32 v12, v12, v13
	ds_bpermute_b32 v13, v189, v12
	s_waitcnt lgkmcnt(0)
	v_add_f32_e32 v12, v12, v13
	s_cbranch_vccnz .LBB14_17
; %bb.16:                               ;   in Loop: Header=BB14_11 Depth=1
	global_load_ushort v13, v[36:37], off offset:-2
	s_waitcnt vmcnt(0)
	v_fma_mix_f32 v12, v184, v13, v12 op_sel_hi:[0,1,0]
.LBB14_17:                              ;   in Loop: Header=BB14_11 Depth=1
	v_lshl_add_u64 v[16:17], v[34:35], 0, s[22:23]
	v_lshl_add_u64 v[14:15], v[42:43], 0, s[22:23]
	global_load_dword v13, v[16:17], off offset:8
	global_load_dwordx2 v[18:19], v[14:15], off
	global_load_dword v203, v[16:17], off offset:32
	global_load_dwordx2 v[20:21], v[14:15], off offset:24
	global_load_dword v207, v[16:17], off offset:56
	global_load_dwordx2 v[22:23], v[14:15], off offset:48
	global_load_dword v209, v[16:17], off offset:80
	s_nop 0
	global_load_dwordx2 v[14:15], v[14:15], off offset:72
	v_mov_b32_e32 v204, 0
	v_mov_b32_e32 v205, 0
	v_mov_b32_e32 v206, 0
	v_mov_b32_e32 v208, 0
	s_and_b64 vcc, exec, s[12:13]
	s_waitcnt vmcnt(7)
	v_and_b32_e32 v16, 0xf0f0f0f, v13
	s_waitcnt vmcnt(6)
	v_ashrrev_i32_e32 v17, v24, v19
	v_ashrrev_i32_e32 v19, v194, v19
	v_lshrrev_b32_e32 v13, 4, v13
	s_waitcnt vmcnt(4)
	v_ashrrev_i32_e32 v212, v24, v21
	v_ashrrev_i32_e32 v21, v194, v21
	v_lshlrev_b32_e32 v216, 4, v17
	v_lshlrev_b32_e32 v217, 11, v17
	v_lshlrev_b32_e32 v218, 18, v17
	v_lshlrev_b32_e32 v17, 25, v17
	v_lshlrev_b32_e32 v219, 4, v19
	v_lshlrev_b32_e32 v220, 11, v19
	v_lshlrev_b32_e32 v221, 18, v19
	v_lshlrev_b32_e32 v19, 25, v19
	v_cvt_f32_f16_e32 v210, v18
	v_and_b32_e32 v211, 0xf0f0f0f, v203
	v_cvt_f32_f16_e32 v213, v20
	v_cvt_f32_f16_sdwa v20, v20 dst_sel:DWORD dst_unused:UNUSED_PAD src0_sel:WORD_1
	v_lshrrev_b32_e32 v203, 4, v203
	v_and_b32_e32 v13, 0xf0f0f0f, v13
	v_lshlrev_b32_e32 v225, 4, v21
	v_lshlrev_b32_e32 v226, 11, v21
	;; [unrolled: 1-line block ×4, first 2 shown]
	v_and_b32_e32 v218, 0x100000, v218
	v_and_b32_e32 v17, 0x10000000, v17
	;; [unrolled: 1-line block ×11, first 2 shown]
	v_or3_b32 v16, v17, v16, v218
	v_or3_b32 v13, v19, v13, v221
	v_cvt_f32_f16_sdwa v18, v18 dst_sel:DWORD dst_unused:UNUSED_PAD src0_sel:WORD_1
	v_lshlrev_b32_e32 v222, 4, v212
	v_lshlrev_b32_e32 v223, 11, v212
	v_lshlrev_b32_e32 v224, 18, v212
	v_lshlrev_b32_e32 v212, 25, v212
	v_or3_b32 v19, v21, v203, v227
	v_or3_b32 v21, v16, v216, v217
	;; [unrolled: 1-line block ×3, first 2 shown]
	v_and_b32_e32 v224, 0x100000, v224
	v_and_b32_e32 v212, 0x10000000, v212
	v_dot4c_i32_i8_e32 v204, v21, v26
	v_dot4c_i32_i8_e32 v205, v13, v27
	v_and_b32_e32 v222, 16, v222
	v_and_b32_e32 v223, 0x1000, v223
	v_or3_b32 v17, v212, v211, v224
	v_mul_f32_e32 v16, v0, v210
	v_mul_f32_e32 v210, v3, v20
	v_cvt_f32_i32_e32 v21, v204
	v_cvt_f32_i32_e32 v20, v205
	v_and_b32_e32 v225, 16, v225
	v_and_b32_e32 v226, 0x1000, v226
	v_or3_b32 v17, v17, v222, v223
	v_mul_f32_e32 v203, v1, v18
	v_or3_b32 v19, v19, v225, v226
	v_dot4c_i32_i8_e32 v206, v17, v28
	v_dot4c_i32_i8_e32 v208, v19, v29
	s_waitcnt vmcnt(2)
	v_ashrrev_i32_e32 v215, v24, v23
	v_lshlrev_b32_e32 v230, 18, v215
	v_cvt_f32_i32_e32 v205, v206
	v_mul_f32_e32 v206, 0x3e000000, v203
	v_cvt_f32_i32_e32 v204, v208
	v_pk_fma_f32 v[16:17], v[16:17], v[20:21], v[206:207] op_sel_hi:[0,1,0]
	v_add_f32_e32 v13, 0, v17
	v_add_f32_e32 v13, v16, v13
	v_lshlrev_b32_e32 v16, 25, v215
	v_and_b32_e32 v214, 0xf0f0f0f, v207
	v_lshlrev_b32_e32 v228, 4, v215
	v_lshlrev_b32_e32 v229, 11, v215
	v_and_b32_e32 v230, 0x100000, v230
	v_mul_f32_e32 v18, v2, v213
	v_mul_f32_e32 v208, 0x3e000000, v210
	v_and_b32_e32 v16, 0x10000000, v16
	v_and_b32_e32 v228, 16, v228
	;; [unrolled: 1-line block ×3, first 2 shown]
	s_waitcnt vmcnt(1)
	v_pk_fma_f32 v[18:19], v[18:19], v[204:205], v[208:209] op_sel_hi:[0,1,0]
	v_or3_b32 v16, v16, v214, v230
	v_add_f32_e32 v13, v13, v19
	v_or3_b32 v16, v16, v228, v229
	v_mov_b32_e32 v17, 0
	v_ashrrev_i32_e32 v20, v194, v23
	v_add_f32_e32 v13, v18, v13
	v_dot4c_i32_i8_e32 v17, v16, v30
	v_cvt_f32_f16_e32 v18, v22
	v_cvt_f32_f16_sdwa v19, v22 dst_sel:DWORD dst_unused:UNUSED_PAD src0_sel:WORD_1
	v_lshrrev_b32_e32 v16, 4, v207
	v_lshlrev_b32_e32 v21, 4, v20
	v_lshlrev_b32_e32 v22, 11, v20
	;; [unrolled: 1-line block ×4, first 2 shown]
	v_and_b32_e32 v16, 0xf0f0f0f, v16
	v_and_b32_e32 v23, 0x100000, v23
	v_and_b32_e32 v20, 0x10000000, v20
	v_and_b32_e32 v21, 16, v21
	v_and_b32_e32 v22, 0x1000, v22
	v_or3_b32 v16, v20, v16, v23
	v_or3_b32 v16, v16, v21, v22
	v_mov_b32_e32 v20, 0
	v_dot4c_i32_i8_e32 v20, v16, v31
	v_cvt_f32_i32_e32 v17, v17
	v_mul_f32_e32 v19, v5, v19
	v_mul_f32_e32 v18, v4, v18
	v_cvt_f32_i32_e32 v16, v20
	v_mul_f32_e32 v20, 0x3e000000, v19
	v_pk_fma_f32 v[16:17], v[18:19], v[16:17], v[20:21] op_sel_hi:[0,1,0]
	v_add_f32_e32 v13, v13, v17
	s_waitcnt vmcnt(0)
	v_ashrrev_i32_e32 v17, v24, v15
	v_lshlrev_b32_e32 v18, 4, v17
	v_lshlrev_b32_e32 v19, 11, v17
	;; [unrolled: 1-line block ×4, first 2 shown]
	v_add_f32_e32 v13, v16, v13
	v_and_b32_e32 v16, 0xf0f0f0f, v209
	v_and_b32_e32 v20, 0x100000, v20
	;; [unrolled: 1-line block ×5, first 2 shown]
	v_or3_b32 v16, v17, v16, v20
	v_or3_b32 v16, v16, v18, v19
	v_mov_b32_e32 v17, 0
	v_ashrrev_i32_e32 v15, v194, v15
	v_dot4c_i32_i8_e32 v17, v16, v32
	v_cvt_f32_f16_e32 v16, v14
	v_cvt_f32_f16_sdwa v18, v14 dst_sel:DWORD dst_unused:UNUSED_PAD src0_sel:WORD_1
	v_lshrrev_b32_e32 v14, 4, v209
	v_lshlrev_b32_e32 v19, 4, v15
	v_lshlrev_b32_e32 v20, 11, v15
	;; [unrolled: 1-line block ×4, first 2 shown]
	v_and_b32_e32 v14, 0xf0f0f0f, v14
	v_and_b32_e32 v21, 0x100000, v21
	;; [unrolled: 1-line block ×5, first 2 shown]
	v_or3_b32 v14, v15, v14, v21
	v_or3_b32 v14, v14, v19, v20
	v_mov_b32_e32 v19, 0
	v_dot4c_i32_i8_e32 v19, v14, v33
	v_cvt_f32_i32_e32 v15, v17
	v_mul_f32_e32 v17, v7, v18
	v_mul_f32_e32 v16, v6, v16
	v_cvt_f32_i32_e32 v14, v19
	v_mul_f32_e32 v18, 0x3e000000, v17
	v_pk_fma_f32 v[14:15], v[16:17], v[14:15], v[18:19] op_sel_hi:[0,1,0]
	v_add_f32_e32 v13, v13, v15
	v_add_f32_e32 v13, v14, v13
	ds_bpermute_b32 v14, v188, v13
	s_waitcnt lgkmcnt(0)
	v_add_f32_e32 v13, v13, v14
	ds_bpermute_b32 v14, v189, v13
	s_waitcnt lgkmcnt(0)
	v_add_f32_e32 v13, v13, v14
	s_cbranch_vccnz .LBB14_19
; %bb.18:                               ;   in Loop: Header=BB14_11 Depth=1
	global_load_ushort v14, v[36:37], off
	s_waitcnt vmcnt(0)
	v_fma_mix_f32 v13, v184, v14, v13 op_sel_hi:[0,1,0]
.LBB14_19:                              ;   in Loop: Header=BB14_11 Depth=1
	v_lshl_add_u64 v[16:17], v[40:41], 0, s[26:27]
	v_lshl_add_u64 v[14:15], v[38:39], 0, s[26:27]
	global_load_dword v210, v[16:17], off
	global_load_dwordx2 v[204:205], v[14:15], off offset:-4
	v_add_f32_e32 v14, 0x40051340, v10
	v_add_f32_e32 v15, 0x40051340, v11
	;; [unrolled: 1-line block ×4, first 2 shown]
	v_max3_f32 v14, v9, v14, v15
	v_max3_f32 v14, v14, v16, v17
	ds_bpermute_b32 v15, v190, v14
	v_lshl_add_u64 v[16:17], v[48:49], 0, s[26:27]
	v_cndmask_b32_e64 v10, v202, v10, s[6:7]
	v_cndmask_b32_e64 v10, v10, v11, s[8:9]
	;; [unrolled: 1-line block ×3, first 2 shown]
	s_waitcnt lgkmcnt(0)
	v_max_f32_e32 v15, v15, v15
	v_max_f32_e32 v20, v14, v15
	v_lshl_add_u64 v[14:15], v[44:45], 0, s[26:27]
	global_load_dword v211, v[16:17], off
	global_load_dwordx2 v[206:207], v[14:15], off
	ds_bpermute_b32 v21, v191, v20
	v_cndmask_b32_e64 v10, v10, v13, s[4:5]
	v_lshl_add_u64 v[18:19], v[50:51], 0, s[26:27]
	global_load_dwordx2 v[208:209], v[18:19], off
	s_add_i32 s16, s16, s46
	s_waitcnt lgkmcnt(0)
	v_max_f32_e32 v11, v21, v21
	v_max_f32_e32 v11, v20, v11
	ds_bpermute_b32 v20, v192, v11
	v_lshl_add_u64 v[34:35], v[34:35], 0, s[48:49]
	v_lshl_add_u64 v[36:37], v[36:37], 0, s[36:37]
	v_lshl_add_u64 v[38:39], v[38:39], 0, s[38:39]
	v_lshl_add_u64 v[40:41], v[40:41], 0, s[38:39]
	s_waitcnt lgkmcnt(0)
	v_max_f32_e32 v12, v20, v20
	v_max_f32_e32 v203, v11, v12
	v_sub_f32_e32 v9, v9, v203
	v_sub_f32_e32 v12, v10, v203
	v_mul_f32_e32 v10, 0x3fb8aa3b, v9
	v_mul_f32_e32 v11, 0x3fb8aa3b, v12
	v_fma_f32 v13, v9, s18, -v10
	v_rndne_f32_e32 v14, v10
	v_fma_f32 v15, v12, s18, -v11
	v_rndne_f32_e32 v16, v11
	v_fmac_f32_e32 v13, 0x32a5705f, v9
	v_sub_f32_e32 v10, v10, v14
	v_fmac_f32_e32 v15, 0x32a5705f, v12
	v_sub_f32_e32 v11, v11, v16
	v_add_f32_e32 v10, v10, v13
	v_cvt_i32_f32_e32 v14, v14
	v_add_f32_e32 v11, v11, v15
	v_exp_f32_e32 v13, v10
	v_cvt_i32_f32_e32 v16, v16
	v_exp_f32_e32 v15, v11
	v_lshl_add_u64 v[10:11], v[52:53], 0, s[26:27]
	global_load_dword v212, v[10:11], off
	v_ldexp_f32 v10, v13, v14
	v_cmp_ngt_f32_e32 vcc, s19, v9
	v_ldexp_f32 v11, v15, v16
	v_lshl_add_u64 v[42:43], v[42:43], 0, s[48:49]
	v_cndmask_b32_e32 v10, 0, v10, vcc
	v_cmp_ngt_f32_e32 vcc, s19, v12
	v_lshl_add_u64 v[44:45], v[44:45], 0, s[38:39]
	v_lshl_add_u64 v[46:47], v[46:47], 0, s[48:49]
	v_cndmask_b32_e32 v11, 0, v11, vcc
	v_cmp_nlt_f32_e32 vcc, s20, v9
	v_lshl_add_u64 v[48:49], v[48:49], 0, s[38:39]
	v_lshl_add_u64 v[50:51], v[50:51], 0, s[38:39]
	v_cndmask_b32_e32 v9, v200, v10, vcc
	v_cmp_nlt_f32_e32 vcc, s20, v12
	v_cvt_f16_f32_e32 v10, v9
	v_lshl_add_u64 v[52:53], v[52:53], 0, s[38:39]
	v_cndmask_b32_e32 v202, v200, v11, vcc
	v_cvt_f16_f32_e32 v11, v202
	v_fma_f32 v187, v187, v9, v202
	v_mul_u32_u24_e32 v9, 0x10001, v10
	v_pk_mul_f16 v213, v8, v9
	ds_write_b16 v185, v11
	ds_read_b128 v[20:23], v193
	v_pk_mul_f16 v25, v25, v9
	ds_read_b128 v[16:19], v193 offset:16
	ds_read_b128 v[12:15], v193 offset:32
	;; [unrolled: 1-line block ×3, first 2 shown]
	v_lshl_add_u64 v[60:61], v[60:61], 0, s[48:49]
	v_lshl_add_u64 v[64:65], v[64:65], 0, s[48:49]
	s_waitcnt lgkmcnt(3)
	v_mul_u32_u24_sdwa v214, v20, s21 dst_sel:DWORD dst_unused:UNUSED_PAD src0_sel:WORD_0 src1_sel:DWORD
	v_mul_u32_u24_sdwa v20, v20, s21 dst_sel:DWORD dst_unused:UNUSED_PAD src0_sel:WORD_1 src1_sel:DWORD
	s_waitcnt vmcnt(5)
	v_ashrrev_i32_e32 v210, v196, v210
	s_waitcnt vmcnt(4)
	v_lshrrev_b32_e32 v215, v195, v205
	v_lshrrev_b32_e32 v216, v197, v205
	;; [unrolled: 1-line block ×4, first 2 shown]
	v_and_b32_e32 v210, 0xf0f0f0f, v210
	v_lshlrev_b32_e32 v215, 4, v215
	v_lshlrev_b32_e32 v216, 12, v216
	;; [unrolled: 1-line block ×4, first 2 shown]
	v_and_or_b32 v210, v215, 16, v210
	v_and_b32_e32 v215, 0x100000, v217
	v_and_b32_e32 v205, 0x10000000, v205
	v_and_or_b32 v216, v216, s17, v210
	v_or3_b32 v205, v215, v205, v216
	v_lshrrev_b32_e32 v215, 8, v216
	v_and_b32_e32 v210, 31, v210
	v_and_b32_e32 v215, 31, v215
	v_mul_u32_u24_sdwa v216, v204, s21 dst_sel:DWORD dst_unused:UNUSED_PAD src0_sel:WORD_0 src1_sel:DWORD
	v_mul_u32_u24_sdwa v217, v204, s21 dst_sel:DWORD dst_unused:UNUSED_PAD src0_sel:WORD_1 src1_sel:DWORD
	v_cvt_f16_u16_e32 v204, v210
	v_cvt_f16_u16_e32 v210, v215
	v_pack_b32_f16 v204, v204, v210
	v_pk_fma_f16 v210, v204, v216, v217
	v_and_b32_sdwa v204, v205, v201 dst_sel:DWORD dst_unused:UNUSED_PAD src0_sel:WORD_1 src1_sel:DWORD
	v_cvt_f16_u16_sdwa v215, v205 dst_sel:DWORD dst_unused:UNUSED_PAD src0_sel:BYTE_3
	v_cvt_f16_u16_e32 v218, v204
	v_lshl_add_u64 v[204:205], v[56:57], 0, s[26:27]
	global_load_dword v219, v[204:205], off
	v_lshl_add_u64 v[204:205], v[54:55], 0, s[26:27]
	global_load_dwordx2 v[204:205], v[204:205], off
	v_pack_b32_f16 v215, v218, v215
	v_pk_fma_f16 v210, v210, v214, v213
	s_waitcnt vmcnt(5)
	v_ashrrev_i32_e32 v211, v196, v211
	s_waitcnt vmcnt(4)
	v_lshrrev_b32_e32 v213, v195, v207
	v_pk_fma_f16 v215, v215, v216, v217
	v_and_b32_e32 v211, 0xf0f0f0f, v211
	v_lshlrev_b32_e32 v213, 4, v213
	v_pk_fma_f16 v25, v215, v214, v25
	v_and_or_b32 v211, v213, 16, v211
	v_lshrrev_b32_e32 v213, v197, v207
	v_lshrrev_b32_e32 v214, v198, v207
	v_lshrrev_b32_e32 v207, v199, v207
	v_lshlrev_b32_e32 v213, 12, v213
	v_lshlrev_b32_e32 v214, 20, v214
	;; [unrolled: 1-line block ×3, first 2 shown]
	v_and_or_b32 v213, v213, s17, v211
	v_and_b32_e32 v214, 0x100000, v214
	v_and_b32_e32 v207, 0x10000000, v207
	v_or3_b32 v207, v214, v207, v213
	v_lshrrev_b32_e32 v213, 8, v213
	v_and_b32_e32 v211, 31, v211
	v_and_b32_e32 v213, 31, v213
	v_mul_u32_u24_sdwa v214, v206, s21 dst_sel:DWORD dst_unused:UNUSED_PAD src0_sel:WORD_0 src1_sel:DWORD
	v_mul_u32_u24_sdwa v215, v206, s21 dst_sel:DWORD dst_unused:UNUSED_PAD src0_sel:WORD_1 src1_sel:DWORD
	v_cvt_f16_u16_e32 v206, v211
	v_cvt_f16_u16_e32 v211, v213
	v_pack_b32_f16 v206, v206, v211
	v_pk_fma_f16 v211, v206, v214, v215
	v_and_b32_sdwa v206, v207, v201 dst_sel:DWORD dst_unused:UNUSED_PAD src0_sel:WORD_1 src1_sel:DWORD
	v_cvt_f16_u16_sdwa v213, v207 dst_sel:DWORD dst_unused:UNUSED_PAD src0_sel:BYTE_3
	v_cvt_f16_u16_e32 v216, v206
	v_lshl_add_u64 v[206:207], v[62:63], 0, s[26:27]
	global_load_dword v217, v[206:207], off
	v_lshl_add_u64 v[206:207], v[58:59], 0, s[26:27]
	global_load_dwordx2 v[206:207], v[206:207], off
	v_pack_b32_f16 v213, v216, v213
	v_pk_fma_f16 v210, v211, v20, v210
	s_waitcnt vmcnt(4)
	v_ashrrev_i32_e32 v211, v196, v212
	v_lshrrev_b32_e32 v212, v195, v209
	v_pk_fma_f16 v213, v213, v214, v215
	v_and_b32_e32 v211, 0xf0f0f0f, v211
	v_lshlrev_b32_e32 v212, 4, v212
	v_pk_fma_f16 v20, v213, v20, v25
	v_and_or_b32 v211, v212, 16, v211
	v_lshrrev_b32_e32 v212, v197, v209
	v_lshrrev_b32_e32 v213, v198, v209
	;; [unrolled: 1-line block ×3, first 2 shown]
	v_lshlrev_b32_e32 v212, 12, v212
	v_lshlrev_b32_e32 v213, 20, v213
	;; [unrolled: 1-line block ×3, first 2 shown]
	v_and_or_b32 v212, v212, s17, v211
	v_and_b32_e32 v213, 0x100000, v213
	v_and_b32_e32 v209, 0x10000000, v209
	v_or3_b32 v209, v213, v209, v212
	v_lshrrev_b32_e32 v212, 8, v212
	v_and_b32_e32 v211, 31, v211
	v_and_b32_e32 v212, 31, v212
	v_mul_u32_u24_sdwa v213, v208, s21 dst_sel:DWORD dst_unused:UNUSED_PAD src0_sel:WORD_0 src1_sel:DWORD
	v_mul_u32_u24_sdwa v214, v208, s21 dst_sel:DWORD dst_unused:UNUSED_PAD src0_sel:WORD_1 src1_sel:DWORD
	v_cvt_f16_u16_e32 v208, v211
	v_cvt_f16_u16_e32 v211, v212
	v_pack_b32_f16 v208, v208, v211
	v_pk_fma_f16 v211, v208, v213, v214
	v_and_b32_sdwa v208, v209, v201 dst_sel:DWORD dst_unused:UNUSED_PAD src0_sel:WORD_1 src1_sel:DWORD
	v_cvt_f16_u16_sdwa v212, v209 dst_sel:DWORD dst_unused:UNUSED_PAD src0_sel:BYTE_3
	v_cvt_f16_u16_e32 v215, v208
	v_lshl_add_u64 v[208:209], v[68:69], 0, s[26:27]
	global_load_dword v216, v[208:209], off
	v_lshl_add_u64 v[208:209], v[66:67], 0, s[26:27]
	global_load_dwordx2 v[208:209], v[208:209], off
	v_pack_b32_f16 v212, v215, v212
	v_mul_u32_u24_sdwa v25, v21, s21 dst_sel:DWORD dst_unused:UNUSED_PAD src0_sel:WORD_0 src1_sel:DWORD
	v_pk_fma_f16 v212, v212, v213, v214
	v_pk_fma_f16 v210, v211, v25, v210
	;; [unrolled: 1-line block ×3, first 2 shown]
	v_mul_u32_u24_sdwa v211, v21, s21 dst_sel:DWORD dst_unused:UNUSED_PAD src0_sel:WORD_1 src1_sel:DWORD
	v_lshl_add_u64 v[54:55], v[54:55], 0, s[38:39]
	s_waitcnt vmcnt(5)
	v_ashrrev_i32_e32 v20, v196, v219
	v_and_b32_e32 v20, 0xf0f0f0f, v20
	s_waitcnt vmcnt(4)
	v_lshrrev_b32_e32 v21, v195, v205
	v_lshlrev_b32_e32 v21, 4, v21
	v_and_or_b32 v20, v21, 16, v20
	v_lshrrev_b32_e32 v21, v197, v205
	v_lshrrev_b32_e32 v212, v198, v205
	;; [unrolled: 1-line block ×3, first 2 shown]
	v_lshlrev_b32_e32 v21, 12, v21
	v_lshlrev_b32_e32 v212, 20, v212
	;; [unrolled: 1-line block ×3, first 2 shown]
	v_and_or_b32 v21, v21, s17, v20
	v_and_b32_e32 v212, 0x100000, v212
	v_and_b32_e32 v205, 0x10000000, v205
	v_or3_b32 v205, v212, v205, v21
	v_lshrrev_b32_e32 v21, 8, v21
	v_and_b32_e32 v20, 31, v20
	v_and_b32_e32 v21, 31, v21
	v_cvt_f16_u16_e32 v20, v20
	v_cvt_f16_u16_e32 v21, v21
	v_mul_u32_u24_sdwa v212, v204, s21 dst_sel:DWORD dst_unused:UNUSED_PAD src0_sel:WORD_0 src1_sel:DWORD
	v_mul_u32_u24_sdwa v204, v204, s21 dst_sel:DWORD dst_unused:UNUSED_PAD src0_sel:WORD_1 src1_sel:DWORD
	v_pack_b32_f16 v20, v20, v21
	v_pk_fma_f16 v213, v20, v212, v204
	v_and_b32_sdwa v20, v205, v201 dst_sel:DWORD dst_unused:UNUSED_PAD src0_sel:WORD_1 src1_sel:DWORD
	v_cvt_f16_u16_e32 v214, v20
	v_lshl_add_u64 v[20:21], v[72:73], 0, s[26:27]
	v_cvt_f16_u16_sdwa v205, v205 dst_sel:DWORD dst_unused:UNUSED_PAD src0_sel:BYTE_3
	global_load_dword v215, v[20:21], off
	v_lshl_add_u64 v[20:21], v[70:71], 0, s[26:27]
	global_load_dwordx2 v[20:21], v[20:21], off
	v_pack_b32_f16 v205, v214, v205
	v_pk_fma_f16 v204, v205, v212, v204
	v_pk_fma_f16 v210, v213, v211, v210
	v_pk_fma_f16 v25, v204, v211, v25
	s_waitcnt vmcnt(5)
	v_ashrrev_i32_e32 v204, v196, v217
	v_and_b32_e32 v204, 0xf0f0f0f, v204
	s_waitcnt vmcnt(4)
	v_lshrrev_b32_e32 v205, v195, v207
	v_lshlrev_b32_e32 v205, 4, v205
	v_and_or_b32 v204, v205, 16, v204
	v_lshrrev_b32_e32 v205, v197, v207
	v_lshrrev_b32_e32 v212, v198, v207
	;; [unrolled: 1-line block ×3, first 2 shown]
	v_lshlrev_b32_e32 v205, 12, v205
	v_lshlrev_b32_e32 v212, 20, v212
	;; [unrolled: 1-line block ×3, first 2 shown]
	v_and_or_b32 v205, v205, s17, v204
	v_and_b32_e32 v212, 0x100000, v212
	v_and_b32_e32 v207, 0x10000000, v207
	v_or3_b32 v207, v212, v207, v205
	v_lshrrev_b32_e32 v205, 8, v205
	v_and_b32_e32 v204, 31, v204
	v_and_b32_e32 v205, 31, v205
	v_cvt_f16_u16_e32 v204, v204
	v_cvt_f16_u16_e32 v205, v205
	v_mul_u32_u24_sdwa v212, v206, s21 dst_sel:DWORD dst_unused:UNUSED_PAD src0_sel:WORD_0 src1_sel:DWORD
	v_mul_u32_u24_sdwa v206, v206, s21 dst_sel:DWORD dst_unused:UNUSED_PAD src0_sel:WORD_1 src1_sel:DWORD
	v_pack_b32_f16 v204, v204, v205
	v_pk_fma_f16 v213, v204, v212, v206
	v_and_b32_sdwa v204, v207, v201 dst_sel:DWORD dst_unused:UNUSED_PAD src0_sel:WORD_1 src1_sel:DWORD
	v_cvt_f16_u16_e32 v214, v204
	v_lshl_add_u64 v[204:205], v[76:77], 0, s[26:27]
	global_load_dword v217, v[204:205], off
	v_lshl_add_u64 v[204:205], v[74:75], 0, s[26:27]
	global_load_dwordx2 v[204:205], v[204:205], off
	v_cvt_f16_u16_sdwa v207, v207 dst_sel:DWORD dst_unused:UNUSED_PAD src0_sel:BYTE_3
	v_pack_b32_f16 v207, v214, v207
	v_mul_u32_u24_sdwa v211, v22, s21 dst_sel:DWORD dst_unused:UNUSED_PAD src0_sel:WORD_0 src1_sel:DWORD
	v_pk_fma_f16 v206, v207, v212, v206
	v_pk_fma_f16 v210, v213, v211, v210
	;; [unrolled: 1-line block ×3, first 2 shown]
	s_waitcnt vmcnt(5)
	v_ashrrev_i32_e32 v206, v196, v216
	s_waitcnt vmcnt(4)
	v_lshrrev_b32_e32 v207, v195, v209
	v_and_b32_e32 v206, 0xf0f0f0f, v206
	v_lshlrev_b32_e32 v207, 4, v207
	v_and_or_b32 v206, v207, 16, v206
	v_lshrrev_b32_e32 v207, v197, v209
	v_lshrrev_b32_e32 v211, v198, v209
	;; [unrolled: 1-line block ×3, first 2 shown]
	v_lshlrev_b32_e32 v207, 12, v207
	v_lshlrev_b32_e32 v211, 20, v211
	;; [unrolled: 1-line block ×3, first 2 shown]
	v_and_or_b32 v207, v207, s17, v206
	v_and_b32_e32 v211, 0x100000, v211
	v_and_b32_e32 v209, 0x10000000, v209
	v_or3_b32 v209, v211, v209, v207
	v_lshrrev_b32_e32 v207, 8, v207
	v_and_b32_e32 v206, 31, v206
	v_and_b32_e32 v207, 31, v207
	v_cvt_f16_u16_e32 v206, v206
	v_cvt_f16_u16_e32 v207, v207
	v_mul_u32_u24_sdwa v211, v208, s21 dst_sel:DWORD dst_unused:UNUSED_PAD src0_sel:WORD_0 src1_sel:DWORD
	v_mul_u32_u24_sdwa v208, v208, s21 dst_sel:DWORD dst_unused:UNUSED_PAD src0_sel:WORD_1 src1_sel:DWORD
	v_pack_b32_f16 v206, v206, v207
	v_pk_fma_f16 v212, v206, v211, v208
	v_and_b32_sdwa v206, v209, v201 dst_sel:DWORD dst_unused:UNUSED_PAD src0_sel:WORD_1 src1_sel:DWORD
	v_cvt_f16_u16_e32 v213, v206
	v_lshl_add_u64 v[206:207], v[84:85], 0, s[26:27]
	v_cvt_f16_u16_sdwa v209, v209 dst_sel:DWORD dst_unused:UNUSED_PAD src0_sel:BYTE_3
	global_load_dword v214, v[206:207], off
	v_lshl_add_u64 v[206:207], v[80:81], 0, s[26:27]
	global_load_dwordx2 v[206:207], v[206:207], off
	v_pack_b32_f16 v209, v213, v209
	v_mul_u32_u24_sdwa v22, v22, s21 dst_sel:DWORD dst_unused:UNUSED_PAD src0_sel:WORD_1 src1_sel:DWORD
	v_pk_fma_f16 v208, v209, v211, v208
	v_pk_fma_f16 v209, v212, v22, v210
	;; [unrolled: 1-line block ×3, first 2 shown]
	v_mul_u32_u24_sdwa v25, v23, s21 dst_sel:DWORD dst_unused:UNUSED_PAD src0_sel:WORD_0 src1_sel:DWORD
	s_waitcnt vmcnt(5)
	v_ashrrev_i32_e32 v208, v196, v215
	v_and_b32_e32 v208, 0xf0f0f0f, v208
	s_waitcnt vmcnt(4)
	v_lshrrev_b32_e32 v210, v195, v21
	v_lshlrev_b32_e32 v210, 4, v210
	v_and_or_b32 v208, v210, 16, v208
	v_lshrrev_b32_e32 v210, v197, v21
	v_lshrrev_b32_e32 v211, v198, v21
	;; [unrolled: 1-line block ×3, first 2 shown]
	v_lshlrev_b32_e32 v210, 12, v210
	v_lshlrev_b32_e32 v211, 20, v211
	;; [unrolled: 1-line block ×3, first 2 shown]
	v_and_or_b32 v210, v210, s17, v208
	v_and_b32_e32 v211, 0x100000, v211
	v_and_b32_e32 v21, 0x10000000, v21
	v_or3_b32 v21, v211, v21, v210
	v_lshrrev_b32_e32 v210, 8, v210
	v_and_b32_e32 v208, 31, v208
	v_and_b32_e32 v210, 31, v210
	v_mul_u32_u24_sdwa v211, v20, s21 dst_sel:DWORD dst_unused:UNUSED_PAD src0_sel:WORD_0 src1_sel:DWORD
	v_mul_u32_u24_sdwa v212, v20, s21 dst_sel:DWORD dst_unused:UNUSED_PAD src0_sel:WORD_1 src1_sel:DWORD
	v_cvt_f16_u16_e32 v20, v208
	v_cvt_f16_u16_e32 v208, v210
	v_pack_b32_f16 v20, v20, v208
	v_pk_fma_f16 v208, v20, v211, v212
	v_and_b32_sdwa v20, v21, v201 dst_sel:DWORD dst_unused:UNUSED_PAD src0_sel:WORD_1 src1_sel:DWORD
	v_cvt_f16_u16_sdwa v210, v21 dst_sel:DWORD dst_unused:UNUSED_PAD src0_sel:BYTE_3
	v_cvt_f16_u16_e32 v213, v20
	v_lshl_add_u64 v[20:21], v[88:89], 0, s[26:27]
	global_load_dword v215, v[20:21], off
	v_lshl_add_u64 v[20:21], v[86:87], 0, s[26:27]
	global_load_dwordx2 v[20:21], v[20:21], off
	v_pack_b32_f16 v210, v213, v210
	v_pk_fma_f16 v210, v210, v211, v212
	v_pk_fma_f16 v208, v208, v25, v209
	;; [unrolled: 1-line block ×3, first 2 shown]
	v_mul_u32_u24_sdwa v209, v23, s21 dst_sel:DWORD dst_unused:UNUSED_PAD src0_sel:WORD_1 src1_sel:DWORD
	s_waitcnt vmcnt(5)
	v_ashrrev_i32_e32 v22, v196, v217
	s_waitcnt vmcnt(4)
	v_lshrrev_b32_e32 v23, v195, v205
	v_and_b32_e32 v22, 0xf0f0f0f, v22
	v_lshlrev_b32_e32 v23, 4, v23
	v_and_or_b32 v22, v23, 16, v22
	v_lshrrev_b32_e32 v23, v197, v205
	v_lshrrev_b32_e32 v210, v198, v205
	;; [unrolled: 1-line block ×3, first 2 shown]
	v_lshlrev_b32_e32 v23, 12, v23
	v_lshlrev_b32_e32 v210, 20, v210
	v_lshlrev_b32_e32 v205, 28, v205
	v_and_or_b32 v23, v23, s17, v22
	v_and_b32_e32 v210, 0x100000, v210
	v_and_b32_e32 v205, 0x10000000, v205
	v_or3_b32 v205, v210, v205, v23
	v_lshrrev_b32_e32 v23, 8, v23
	v_and_b32_e32 v22, 31, v22
	v_and_b32_e32 v23, 31, v23
	v_cvt_f16_u16_e32 v22, v22
	v_cvt_f16_u16_e32 v23, v23
	v_mul_u32_u24_sdwa v210, v204, s21 dst_sel:DWORD dst_unused:UNUSED_PAD src0_sel:WORD_0 src1_sel:DWORD
	v_mul_u32_u24_sdwa v204, v204, s21 dst_sel:DWORD dst_unused:UNUSED_PAD src0_sel:WORD_1 src1_sel:DWORD
	v_pack_b32_f16 v22, v22, v23
	v_pk_fma_f16 v211, v22, v210, v204
	v_and_b32_sdwa v22, v205, v201 dst_sel:DWORD dst_unused:UNUSED_PAD src0_sel:WORD_1 src1_sel:DWORD
	v_cvt_f16_u16_e32 v212, v22
	v_lshl_add_u64 v[22:23], v[92:93], 0, s[26:27]
	global_load_dword v213, v[22:23], off
	v_lshl_add_u64 v[22:23], v[90:91], 0, s[26:27]
	global_load_dwordx2 v[22:23], v[22:23], off
	v_cvt_f16_u16_sdwa v205, v205 dst_sel:DWORD dst_unused:UNUSED_PAD src0_sel:BYTE_3
	v_pack_b32_f16 v205, v212, v205
	v_pk_fma_f16 v204, v205, v210, v204
	v_pk_fma_f16 v208, v211, v209, v208
	;; [unrolled: 1-line block ×3, first 2 shown]
	s_waitcnt vmcnt(5)
	v_ashrrev_i32_e32 v204, v196, v214
	v_and_b32_e32 v204, 0xf0f0f0f, v204
	s_waitcnt vmcnt(4)
	v_lshrrev_b32_e32 v205, v195, v207
	v_lshlrev_b32_e32 v205, 4, v205
	v_and_or_b32 v204, v205, 16, v204
	v_lshrrev_b32_e32 v205, v197, v207
	v_lshrrev_b32_e32 v210, v198, v207
	;; [unrolled: 1-line block ×3, first 2 shown]
	v_lshlrev_b32_e32 v205, 12, v205
	v_lshlrev_b32_e32 v210, 20, v210
	;; [unrolled: 1-line block ×3, first 2 shown]
	v_and_or_b32 v205, v205, s17, v204
	v_and_b32_e32 v210, 0x100000, v210
	v_and_b32_e32 v207, 0x10000000, v207
	v_or3_b32 v207, v210, v207, v205
	v_lshrrev_b32_e32 v205, 8, v205
	v_and_b32_e32 v204, 31, v204
	v_and_b32_e32 v205, 31, v205
	v_cvt_f16_u16_e32 v204, v204
	v_cvt_f16_u16_e32 v205, v205
	v_mul_u32_u24_sdwa v210, v206, s21 dst_sel:DWORD dst_unused:UNUSED_PAD src0_sel:WORD_0 src1_sel:DWORD
	v_mul_u32_u24_sdwa v206, v206, s21 dst_sel:DWORD dst_unused:UNUSED_PAD src0_sel:WORD_1 src1_sel:DWORD
	v_pack_b32_f16 v204, v204, v205
	v_pk_fma_f16 v211, v204, v210, v206
	v_and_b32_sdwa v204, v207, v201 dst_sel:DWORD dst_unused:UNUSED_PAD src0_sel:WORD_1 src1_sel:DWORD
	v_cvt_f16_u16_e32 v212, v204
	v_lshl_add_u64 v[204:205], v[98:99], 0, s[26:27]
	v_cvt_f16_u16_sdwa v207, v207 dst_sel:DWORD dst_unused:UNUSED_PAD src0_sel:BYTE_3
	global_load_dword v214, v[204:205], off
	v_lshl_add_u64 v[204:205], v[94:95], 0, s[26:27]
	global_load_dwordx2 v[204:205], v[204:205], off
	v_pack_b32_f16 v207, v212, v207
	s_waitcnt lgkmcnt(2)
	v_mul_u32_u24_sdwa v209, v16, s21 dst_sel:DWORD dst_unused:UNUSED_PAD src0_sel:WORD_0 src1_sel:DWORD
	v_pk_fma_f16 v206, v207, v210, v206
	v_pk_fma_f16 v207, v211, v209, v208
	;; [unrolled: 1-line block ×3, first 2 shown]
	v_mul_u32_u24_sdwa v16, v16, s21 dst_sel:DWORD dst_unused:UNUSED_PAD src0_sel:WORD_1 src1_sel:DWORD
	s_waitcnt vmcnt(5)
	v_ashrrev_i32_e32 v206, v196, v215
	v_and_b32_e32 v206, 0xf0f0f0f, v206
	s_waitcnt vmcnt(4)
	v_lshrrev_b32_e32 v208, v195, v21
	v_lshlrev_b32_e32 v208, 4, v208
	v_and_or_b32 v206, v208, 16, v206
	v_lshrrev_b32_e32 v208, v197, v21
	v_lshrrev_b32_e32 v209, v198, v21
	;; [unrolled: 1-line block ×3, first 2 shown]
	v_lshlrev_b32_e32 v208, 12, v208
	v_lshlrev_b32_e32 v209, 20, v209
	;; [unrolled: 1-line block ×3, first 2 shown]
	v_and_or_b32 v208, v208, s17, v206
	v_and_b32_e32 v209, 0x100000, v209
	v_and_b32_e32 v21, 0x10000000, v21
	v_or3_b32 v21, v209, v21, v208
	v_lshrrev_b32_e32 v208, 8, v208
	v_and_b32_e32 v206, 31, v206
	v_and_b32_e32 v208, 31, v208
	v_mul_u32_u24_sdwa v209, v20, s21 dst_sel:DWORD dst_unused:UNUSED_PAD src0_sel:WORD_0 src1_sel:DWORD
	v_mul_u32_u24_sdwa v210, v20, s21 dst_sel:DWORD dst_unused:UNUSED_PAD src0_sel:WORD_1 src1_sel:DWORD
	v_cvt_f16_u16_e32 v20, v206
	v_cvt_f16_u16_e32 v206, v208
	v_pack_b32_f16 v20, v20, v206
	v_pk_fma_f16 v206, v20, v209, v210
	v_and_b32_sdwa v20, v21, v201 dst_sel:DWORD dst_unused:UNUSED_PAD src0_sel:WORD_1 src1_sel:DWORD
	v_cvt_f16_u16_sdwa v208, v21 dst_sel:DWORD dst_unused:UNUSED_PAD src0_sel:BYTE_3
	v_cvt_f16_u16_e32 v211, v20
	v_lshl_add_u64 v[20:21], v[108:109], 0, s[26:27]
	global_load_dword v212, v[20:21], off
	v_lshl_add_u64 v[20:21], v[102:103], 0, s[26:27]
	global_load_dwordx2 v[20:21], v[20:21], off
	v_pack_b32_f16 v208, v211, v208
	v_pk_fma_f16 v208, v208, v209, v210
	v_pk_fma_f16 v206, v206, v16, v207
	;; [unrolled: 1-line block ×3, first 2 shown]
	s_waitcnt vmcnt(5)
	v_ashrrev_i32_e32 v207, v196, v213
	v_and_b32_e32 v207, 0xf0f0f0f, v207
	s_waitcnt vmcnt(4)
	v_lshrrev_b32_e32 v208, v195, v23
	v_lshlrev_b32_e32 v208, 4, v208
	v_and_or_b32 v207, v208, 16, v207
	v_lshrrev_b32_e32 v208, v197, v23
	v_lshrrev_b32_e32 v209, v198, v23
	;; [unrolled: 1-line block ×3, first 2 shown]
	v_lshlrev_b32_e32 v208, 12, v208
	v_lshlrev_b32_e32 v209, 20, v209
	;; [unrolled: 1-line block ×3, first 2 shown]
	v_and_or_b32 v208, v208, s17, v207
	v_and_b32_e32 v209, 0x100000, v209
	v_and_b32_e32 v23, 0x10000000, v23
	v_or3_b32 v23, v209, v23, v208
	v_lshrrev_b32_e32 v208, 8, v208
	v_and_b32_e32 v207, 31, v207
	v_and_b32_e32 v208, 31, v208
	v_mul_u32_u24_sdwa v209, v22, s21 dst_sel:DWORD dst_unused:UNUSED_PAD src0_sel:WORD_0 src1_sel:DWORD
	v_mul_u32_u24_sdwa v210, v22, s21 dst_sel:DWORD dst_unused:UNUSED_PAD src0_sel:WORD_1 src1_sel:DWORD
	v_cvt_f16_u16_e32 v22, v207
	v_cvt_f16_u16_e32 v207, v208
	v_pack_b32_f16 v22, v22, v207
	v_pk_fma_f16 v207, v22, v209, v210
	v_and_b32_sdwa v22, v23, v201 dst_sel:DWORD dst_unused:UNUSED_PAD src0_sel:WORD_1 src1_sel:DWORD
	v_cvt_f16_u16_sdwa v208, v23 dst_sel:DWORD dst_unused:UNUSED_PAD src0_sel:BYTE_3
	v_cvt_f16_u16_e32 v211, v22
	v_lshl_add_u64 v[22:23], v[120:121], 0, s[26:27]
	global_load_dword v213, v[22:23], off
	v_lshl_add_u64 v[22:23], v[114:115], 0, s[26:27]
	global_load_dwordx2 v[22:23], v[22:23], off
	v_pack_b32_f16 v208, v211, v208
	v_mul_u32_u24_sdwa v25, v17, s21 dst_sel:DWORD dst_unused:UNUSED_PAD src0_sel:WORD_0 src1_sel:DWORD
	v_pk_fma_f16 v208, v208, v209, v210
	v_pk_fma_f16 v206, v207, v25, v206
	;; [unrolled: 1-line block ×3, first 2 shown]
	v_mul_u32_u24_sdwa v207, v17, s21 dst_sel:DWORD dst_unused:UNUSED_PAD src0_sel:WORD_1 src1_sel:DWORD
	s_waitcnt vmcnt(5)
	v_ashrrev_i32_e32 v16, v196, v214
	s_waitcnt vmcnt(4)
	v_lshrrev_b32_e32 v17, v195, v205
	v_and_b32_e32 v16, 0xf0f0f0f, v16
	v_lshlrev_b32_e32 v17, 4, v17
	v_and_or_b32 v16, v17, 16, v16
	v_lshrrev_b32_e32 v17, v197, v205
	v_lshrrev_b32_e32 v208, v198, v205
	;; [unrolled: 1-line block ×3, first 2 shown]
	v_lshlrev_b32_e32 v17, 12, v17
	v_lshlrev_b32_e32 v208, 20, v208
	;; [unrolled: 1-line block ×3, first 2 shown]
	v_and_or_b32 v17, v17, s17, v16
	v_and_b32_e32 v208, 0x100000, v208
	v_and_b32_e32 v205, 0x10000000, v205
	v_or3_b32 v205, v208, v205, v17
	v_lshrrev_b32_e32 v17, 8, v17
	v_and_b32_e32 v16, 31, v16
	v_and_b32_e32 v17, 31, v17
	v_cvt_f16_u16_e32 v16, v16
	v_cvt_f16_u16_e32 v17, v17
	v_mul_u32_u24_sdwa v208, v204, s21 dst_sel:DWORD dst_unused:UNUSED_PAD src0_sel:WORD_0 src1_sel:DWORD
	v_mul_u32_u24_sdwa v204, v204, s21 dst_sel:DWORD dst_unused:UNUSED_PAD src0_sel:WORD_1 src1_sel:DWORD
	v_pack_b32_f16 v16, v16, v17
	v_pk_fma_f16 v209, v16, v208, v204
	v_and_b32_sdwa v16, v205, v201 dst_sel:DWORD dst_unused:UNUSED_PAD src0_sel:WORD_1 src1_sel:DWORD
	v_cvt_f16_u16_e32 v210, v16
	v_lshl_add_u64 v[16:17], v[132:133], 0, s[26:27]
	v_cvt_f16_u16_sdwa v205, v205 dst_sel:DWORD dst_unused:UNUSED_PAD src0_sel:BYTE_3
	global_load_dword v211, v[16:17], off
	v_lshl_add_u64 v[16:17], v[126:127], 0, s[26:27]
	global_load_dwordx2 v[16:17], v[16:17], off
	v_pack_b32_f16 v205, v210, v205
	v_pk_fma_f16 v204, v205, v208, v204
	v_pk_fma_f16 v205, v209, v207, v206
	;; [unrolled: 1-line block ×3, first 2 shown]
	v_mul_u32_u24_sdwa v204, v18, s21 dst_sel:DWORD dst_unused:UNUSED_PAD src0_sel:WORD_0 src1_sel:DWORD
	s_waitcnt vmcnt(5)
	v_ashrrev_i32_e32 v206, v196, v212
	v_and_b32_e32 v206, 0xf0f0f0f, v206
	s_waitcnt vmcnt(4)
	v_lshrrev_b32_e32 v207, v195, v21
	v_lshlrev_b32_e32 v207, 4, v207
	v_and_or_b32 v206, v207, 16, v206
	v_lshrrev_b32_e32 v207, v197, v21
	v_lshrrev_b32_e32 v208, v198, v21
	;; [unrolled: 1-line block ×3, first 2 shown]
	v_lshlrev_b32_e32 v207, 12, v207
	v_lshlrev_b32_e32 v208, 20, v208
	;; [unrolled: 1-line block ×3, first 2 shown]
	v_and_or_b32 v207, v207, s17, v206
	v_and_b32_e32 v208, 0x100000, v208
	v_and_b32_e32 v21, 0x10000000, v21
	v_or3_b32 v21, v208, v21, v207
	v_lshrrev_b32_e32 v207, 8, v207
	v_and_b32_e32 v206, 31, v206
	v_and_b32_e32 v207, 31, v207
	v_mul_u32_u24_sdwa v208, v20, s21 dst_sel:DWORD dst_unused:UNUSED_PAD src0_sel:WORD_0 src1_sel:DWORD
	v_mul_u32_u24_sdwa v209, v20, s21 dst_sel:DWORD dst_unused:UNUSED_PAD src0_sel:WORD_1 src1_sel:DWORD
	v_cvt_f16_u16_e32 v20, v206
	v_cvt_f16_u16_e32 v206, v207
	v_pack_b32_f16 v20, v20, v206
	v_pk_fma_f16 v206, v20, v208, v209
	v_and_b32_sdwa v20, v21, v201 dst_sel:DWORD dst_unused:UNUSED_PAD src0_sel:WORD_1 src1_sel:DWORD
	v_cvt_f16_u16_sdwa v207, v21 dst_sel:DWORD dst_unused:UNUSED_PAD src0_sel:BYTE_3
	v_cvt_f16_u16_e32 v210, v20
	v_lshl_add_u64 v[20:21], v[144:145], 0, s[26:27]
	global_load_dword v212, v[20:21], off
	v_lshl_add_u64 v[20:21], v[138:139], 0, s[26:27]
	global_load_dwordx2 v[20:21], v[20:21], off
	v_pack_b32_f16 v207, v210, v207
	v_pk_fma_f16 v207, v207, v208, v209
	v_pk_fma_f16 v205, v206, v204, v205
	;; [unrolled: 1-line block ×3, first 2 shown]
	s_waitcnt vmcnt(5)
	v_ashrrev_i32_e32 v204, v196, v213
	v_and_b32_e32 v204, 0xf0f0f0f, v204
	s_waitcnt vmcnt(4)
	v_lshrrev_b32_e32 v206, v195, v23
	v_lshlrev_b32_e32 v206, 4, v206
	v_and_or_b32 v204, v206, 16, v204
	v_lshrrev_b32_e32 v206, v197, v23
	v_lshrrev_b32_e32 v207, v198, v23
	;; [unrolled: 1-line block ×3, first 2 shown]
	v_lshlrev_b32_e32 v206, 12, v206
	v_lshlrev_b32_e32 v207, 20, v207
	;; [unrolled: 1-line block ×3, first 2 shown]
	v_and_or_b32 v206, v206, s17, v204
	v_and_b32_e32 v207, 0x100000, v207
	v_and_b32_e32 v23, 0x10000000, v23
	v_or3_b32 v23, v207, v23, v206
	v_lshrrev_b32_e32 v206, 8, v206
	v_and_b32_e32 v204, 31, v204
	v_and_b32_e32 v206, 31, v206
	v_mul_u32_u24_sdwa v207, v22, s21 dst_sel:DWORD dst_unused:UNUSED_PAD src0_sel:WORD_0 src1_sel:DWORD
	v_mul_u32_u24_sdwa v208, v22, s21 dst_sel:DWORD dst_unused:UNUSED_PAD src0_sel:WORD_1 src1_sel:DWORD
	v_cvt_f16_u16_e32 v22, v204
	v_cvt_f16_u16_e32 v204, v206
	v_pack_b32_f16 v22, v22, v204
	v_pk_fma_f16 v204, v22, v207, v208
	v_and_b32_sdwa v22, v23, v201 dst_sel:DWORD dst_unused:UNUSED_PAD src0_sel:WORD_1 src1_sel:DWORD
	v_cvt_f16_u16_sdwa v206, v23 dst_sel:DWORD dst_unused:UNUSED_PAD src0_sel:BYTE_3
	v_cvt_f16_u16_e32 v209, v22
	v_lshl_add_u64 v[22:23], v[156:157], 0, s[26:27]
	global_load_dword v210, v[22:23], off
	v_lshl_add_u64 v[22:23], v[150:151], 0, s[26:27]
	global_load_dwordx2 v[22:23], v[22:23], off
	v_pack_b32_f16 v206, v209, v206
	v_mul_u32_u24_sdwa v18, v18, s21 dst_sel:DWORD dst_unused:UNUSED_PAD src0_sel:WORD_1 src1_sel:DWORD
	v_pk_fma_f16 v206, v206, v207, v208
	v_pk_fma_f16 v204, v204, v18, v205
	;; [unrolled: 1-line block ×3, first 2 shown]
	v_mul_u32_u24_sdwa v25, v19, s21 dst_sel:DWORD dst_unused:UNUSED_PAD src0_sel:WORD_0 src1_sel:DWORD
	s_waitcnt vmcnt(5)
	v_ashrrev_i32_e32 v205, v196, v211
	v_and_b32_e32 v205, 0xf0f0f0f, v205
	s_waitcnt vmcnt(4)
	v_lshrrev_b32_e32 v206, v195, v17
	v_lshlrev_b32_e32 v206, 4, v206
	v_and_or_b32 v205, v206, 16, v205
	v_lshrrev_b32_e32 v206, v197, v17
	v_lshrrev_b32_e32 v207, v198, v17
	;; [unrolled: 1-line block ×3, first 2 shown]
	v_lshlrev_b32_e32 v206, 12, v206
	v_lshlrev_b32_e32 v207, 20, v207
	v_lshlrev_b32_e32 v17, 28, v17
	v_and_or_b32 v206, v206, s17, v205
	v_and_b32_e32 v207, 0x100000, v207
	v_and_b32_e32 v17, 0x10000000, v17
	v_or3_b32 v17, v207, v17, v206
	v_lshrrev_b32_e32 v206, 8, v206
	v_and_b32_e32 v205, 31, v205
	v_and_b32_e32 v206, 31, v206
	v_mul_u32_u24_sdwa v207, v16, s21 dst_sel:DWORD dst_unused:UNUSED_PAD src0_sel:WORD_0 src1_sel:DWORD
	v_mul_u32_u24_sdwa v208, v16, s21 dst_sel:DWORD dst_unused:UNUSED_PAD src0_sel:WORD_1 src1_sel:DWORD
	v_cvt_f16_u16_e32 v16, v205
	v_cvt_f16_u16_e32 v205, v206
	v_pack_b32_f16 v16, v16, v205
	v_pk_fma_f16 v205, v16, v207, v208
	v_and_b32_sdwa v16, v17, v201 dst_sel:DWORD dst_unused:UNUSED_PAD src0_sel:WORD_1 src1_sel:DWORD
	v_cvt_f16_u16_sdwa v206, v17 dst_sel:DWORD dst_unused:UNUSED_PAD src0_sel:BYTE_3
	v_cvt_f16_u16_e32 v209, v16
	v_lshl_add_u64 v[16:17], v[168:169], 0, s[26:27]
	global_load_dword v211, v[16:17], off
	v_lshl_add_u64 v[16:17], v[162:163], 0, s[26:27]
	global_load_dwordx2 v[16:17], v[16:17], off
	v_pack_b32_f16 v206, v209, v206
	v_pk_fma_f16 v206, v206, v207, v208
	v_pk_fma_f16 v204, v205, v25, v204
	;; [unrolled: 1-line block ×3, first 2 shown]
	v_mul_u32_u24_sdwa v205, v19, s21 dst_sel:DWORD dst_unused:UNUSED_PAD src0_sel:WORD_1 src1_sel:DWORD
	s_waitcnt vmcnt(5)
	v_ashrrev_i32_e32 v18, v196, v212
	v_and_b32_e32 v18, 0xf0f0f0f, v18
	s_waitcnt vmcnt(4)
	v_lshrrev_b32_e32 v19, v195, v21
	v_lshlrev_b32_e32 v19, 4, v19
	v_and_or_b32 v18, v19, 16, v18
	v_lshrrev_b32_e32 v19, v197, v21
	v_lshrrev_b32_e32 v206, v198, v21
	;; [unrolled: 1-line block ×3, first 2 shown]
	v_lshlrev_b32_e32 v19, 12, v19
	v_lshlrev_b32_e32 v206, 20, v206
	;; [unrolled: 1-line block ×3, first 2 shown]
	v_and_or_b32 v19, v19, s17, v18
	v_and_b32_e32 v206, 0x100000, v206
	v_and_b32_e32 v21, 0x10000000, v21
	v_or3_b32 v21, v206, v21, v19
	v_lshrrev_b32_e32 v19, 8, v19
	v_and_b32_e32 v18, 31, v18
	v_and_b32_e32 v19, 31, v19
	v_cvt_f16_u16_e32 v18, v18
	v_cvt_f16_u16_e32 v19, v19
	v_mul_u32_u24_sdwa v206, v20, s21 dst_sel:DWORD dst_unused:UNUSED_PAD src0_sel:WORD_0 src1_sel:DWORD
	v_mul_u32_u24_sdwa v20, v20, s21 dst_sel:DWORD dst_unused:UNUSED_PAD src0_sel:WORD_1 src1_sel:DWORD
	v_pack_b32_f16 v18, v18, v19
	v_pk_fma_f16 v207, v18, v206, v20
	v_and_b32_sdwa v18, v21, v201 dst_sel:DWORD dst_unused:UNUSED_PAD src0_sel:WORD_1 src1_sel:DWORD
	v_cvt_f16_u16_e32 v208, v18
	v_lshl_add_u64 v[18:19], v[178:179], 0, s[26:27]
	v_cvt_f16_u16_sdwa v21, v21 dst_sel:DWORD dst_unused:UNUSED_PAD src0_sel:BYTE_3
	global_load_dword v209, v[18:19], off
	v_lshl_add_u64 v[18:19], v[174:175], 0, s[26:27]
	global_load_dwordx2 v[18:19], v[18:19], off
	v_pack_b32_f16 v21, v208, v21
	v_pk_fma_f16 v20, v21, v206, v20
	v_pk_fma_f16 v204, v207, v205, v204
	;; [unrolled: 1-line block ×3, first 2 shown]
	s_waitcnt vmcnt(5)
	v_ashrrev_i32_e32 v20, v196, v210
	v_and_b32_e32 v20, 0xf0f0f0f, v20
	s_waitcnt vmcnt(4)
	v_lshrrev_b32_e32 v21, v195, v23
	v_lshlrev_b32_e32 v21, 4, v21
	v_and_or_b32 v20, v21, 16, v20
	v_lshrrev_b32_e32 v21, v197, v23
	v_lshrrev_b32_e32 v206, v198, v23
	;; [unrolled: 1-line block ×3, first 2 shown]
	v_lshlrev_b32_e32 v21, 12, v21
	v_lshlrev_b32_e32 v206, 20, v206
	;; [unrolled: 1-line block ×3, first 2 shown]
	v_and_or_b32 v21, v21, s17, v20
	v_and_b32_e32 v206, 0x100000, v206
	v_and_b32_e32 v23, 0x10000000, v23
	v_or3_b32 v23, v206, v23, v21
	v_lshrrev_b32_e32 v21, 8, v21
	v_and_b32_e32 v20, 31, v20
	v_and_b32_e32 v21, 31, v21
	v_cvt_f16_u16_e32 v20, v20
	v_cvt_f16_u16_e32 v21, v21
	v_mul_u32_u24_sdwa v206, v22, s21 dst_sel:DWORD dst_unused:UNUSED_PAD src0_sel:WORD_0 src1_sel:DWORD
	v_mul_u32_u24_sdwa v22, v22, s21 dst_sel:DWORD dst_unused:UNUSED_PAD src0_sel:WORD_1 src1_sel:DWORD
	v_pack_b32_f16 v20, v20, v21
	v_pk_fma_f16 v207, v20, v206, v22
	v_and_b32_sdwa v20, v23, v201 dst_sel:DWORD dst_unused:UNUSED_PAD src0_sel:WORD_1 src1_sel:DWORD
	v_cvt_f16_u16_e32 v208, v20
	v_lshl_add_u64 v[20:21], v[172:173], 0, s[26:27]
	global_load_dword v210, v[20:21], off
	v_lshl_add_u64 v[20:21], v[176:177], 0, s[26:27]
	global_load_dwordx2 v[20:21], v[20:21], off offset:-4
	v_cvt_f16_u16_sdwa v23, v23 dst_sel:DWORD dst_unused:UNUSED_PAD src0_sel:BYTE_3
	v_pack_b32_f16 v23, v208, v23
	s_waitcnt lgkmcnt(1)
	v_mul_u32_u24_sdwa v205, v12, s21 dst_sel:DWORD dst_unused:UNUSED_PAD src0_sel:WORD_0 src1_sel:DWORD
	v_pk_fma_f16 v22, v23, v206, v22
	v_pk_fma_f16 v23, v207, v205, v204
	;; [unrolled: 1-line block ×3, first 2 shown]
	v_mul_u32_u24_sdwa v12, v12, s21 dst_sel:DWORD dst_unused:UNUSED_PAD src0_sel:WORD_1 src1_sel:DWORD
	s_waitcnt vmcnt(5)
	v_ashrrev_i32_e32 v25, v196, v211
	v_and_b32_e32 v25, 0xf0f0f0f, v25
	s_waitcnt vmcnt(4)
	v_lshrrev_b32_e32 v204, v195, v17
	v_lshlrev_b32_e32 v204, 4, v204
	v_and_or_b32 v25, v204, 16, v25
	v_lshrrev_b32_e32 v204, v197, v17
	v_lshrrev_b32_e32 v205, v198, v17
	;; [unrolled: 1-line block ×3, first 2 shown]
	v_lshlrev_b32_e32 v204, 12, v204
	v_lshlrev_b32_e32 v205, 20, v205
	;; [unrolled: 1-line block ×3, first 2 shown]
	v_and_or_b32 v204, v204, s17, v25
	v_and_b32_e32 v205, 0x100000, v205
	v_and_b32_e32 v17, 0x10000000, v17
	v_or3_b32 v17, v205, v17, v204
	v_lshrrev_b32_e32 v204, 8, v204
	v_and_b32_e32 v25, 31, v25
	v_and_b32_e32 v204, 31, v204
	v_mul_u32_u24_sdwa v205, v16, s21 dst_sel:DWORD dst_unused:UNUSED_PAD src0_sel:WORD_0 src1_sel:DWORD
	v_mul_u32_u24_sdwa v206, v16, s21 dst_sel:DWORD dst_unused:UNUSED_PAD src0_sel:WORD_1 src1_sel:DWORD
	v_cvt_f16_u16_e32 v16, v25
	v_cvt_f16_u16_e32 v25, v204
	v_pack_b32_f16 v16, v16, v25
	v_pk_fma_f16 v25, v16, v205, v206
	v_and_b32_sdwa v16, v17, v201 dst_sel:DWORD dst_unused:UNUSED_PAD src0_sel:WORD_1 src1_sel:DWORD
	v_cvt_f16_u16_sdwa v204, v17 dst_sel:DWORD dst_unused:UNUSED_PAD src0_sel:BYTE_3
	v_cvt_f16_u16_e32 v207, v16
	v_lshl_add_u64 v[16:17], v[166:167], 0, s[26:27]
	global_load_dword v208, v[16:17], off
	v_lshl_add_u64 v[16:17], v[170:171], 0, s[26:27]
	global_load_dwordx2 v[16:17], v[16:17], off offset:-4
	v_pack_b32_f16 v204, v207, v204
	v_pk_fma_f16 v204, v204, v205, v206
	v_pk_fma_f16 v23, v25, v12, v23
	;; [unrolled: 1-line block ×3, first 2 shown]
	v_mul_u32_u24_sdwa v22, v13, s21 dst_sel:DWORD dst_unused:UNUSED_PAD src0_sel:WORD_0 src1_sel:DWORD
	s_waitcnt vmcnt(5)
	v_ashrrev_i32_e32 v25, v196, v209
	v_and_b32_e32 v25, 0xf0f0f0f, v25
	s_waitcnt vmcnt(4)
	v_lshrrev_b32_e32 v204, v195, v19
	v_lshlrev_b32_e32 v204, 4, v204
	v_and_or_b32 v25, v204, 16, v25
	v_lshrrev_b32_e32 v204, v197, v19
	v_lshrrev_b32_e32 v205, v198, v19
	;; [unrolled: 1-line block ×3, first 2 shown]
	v_lshlrev_b32_e32 v204, 12, v204
	v_lshlrev_b32_e32 v205, 20, v205
	;; [unrolled: 1-line block ×3, first 2 shown]
	v_and_or_b32 v204, v204, s17, v25
	v_and_b32_e32 v205, 0x100000, v205
	v_and_b32_e32 v19, 0x10000000, v19
	v_or3_b32 v19, v205, v19, v204
	v_lshrrev_b32_e32 v204, 8, v204
	v_and_b32_e32 v25, 31, v25
	v_and_b32_e32 v204, 31, v204
	v_mul_u32_u24_sdwa v205, v18, s21 dst_sel:DWORD dst_unused:UNUSED_PAD src0_sel:WORD_0 src1_sel:DWORD
	v_mul_u32_u24_sdwa v206, v18, s21 dst_sel:DWORD dst_unused:UNUSED_PAD src0_sel:WORD_1 src1_sel:DWORD
	v_cvt_f16_u16_e32 v18, v25
	v_cvt_f16_u16_e32 v25, v204
	v_pack_b32_f16 v18, v18, v25
	v_pk_fma_f16 v25, v18, v205, v206
	v_and_b32_sdwa v18, v19, v201 dst_sel:DWORD dst_unused:UNUSED_PAD src0_sel:WORD_1 src1_sel:DWORD
	v_cvt_f16_u16_sdwa v204, v19 dst_sel:DWORD dst_unused:UNUSED_PAD src0_sel:BYTE_3
	v_cvt_f16_u16_e32 v207, v18
	v_lshl_add_u64 v[18:19], v[160:161], 0, s[26:27]
	global_load_dword v209, v[18:19], off
	v_lshl_add_u64 v[18:19], v[164:165], 0, s[26:27]
	global_load_dwordx2 v[18:19], v[18:19], off offset:-4
	v_pack_b32_f16 v204, v207, v204
	v_pk_fma_f16 v204, v204, v205, v206
	v_pk_fma_f16 v23, v25, v22, v23
	;; [unrolled: 1-line block ×3, first 2 shown]
	v_mul_u32_u24_sdwa v25, v13, s21 dst_sel:DWORD dst_unused:UNUSED_PAD src0_sel:WORD_1 src1_sel:DWORD
	s_waitcnt vmcnt(5)
	v_ashrrev_i32_e32 v12, v196, v210
	s_waitcnt vmcnt(4)
	v_lshrrev_b32_e32 v13, v195, v21
	v_and_b32_e32 v12, 0xf0f0f0f, v12
	v_lshlrev_b32_e32 v13, 4, v13
	v_and_or_b32 v12, v13, 16, v12
	v_lshrrev_b32_e32 v13, v197, v21
	v_lshrrev_b32_e32 v204, v198, v21
	;; [unrolled: 1-line block ×3, first 2 shown]
	v_lshlrev_b32_e32 v13, 12, v13
	v_lshlrev_b32_e32 v204, 20, v204
	;; [unrolled: 1-line block ×3, first 2 shown]
	v_and_or_b32 v13, v13, s17, v12
	v_and_b32_e32 v204, 0x100000, v204
	v_and_b32_e32 v21, 0x10000000, v21
	v_or3_b32 v21, v204, v21, v13
	v_lshrrev_b32_e32 v13, 8, v13
	v_and_b32_e32 v12, 31, v12
	v_and_b32_e32 v13, 31, v13
	v_cvt_f16_u16_e32 v12, v12
	v_cvt_f16_u16_e32 v13, v13
	v_mul_u32_u24_sdwa v204, v20, s21 dst_sel:DWORD dst_unused:UNUSED_PAD src0_sel:WORD_0 src1_sel:DWORD
	v_mul_u32_u24_sdwa v20, v20, s21 dst_sel:DWORD dst_unused:UNUSED_PAD src0_sel:WORD_1 src1_sel:DWORD
	v_pack_b32_f16 v12, v12, v13
	v_pk_fma_f16 v205, v12, v204, v20
	v_and_b32_sdwa v12, v21, v201 dst_sel:DWORD dst_unused:UNUSED_PAD src0_sel:WORD_1 src1_sel:DWORD
	v_cvt_f16_u16_e32 v206, v12
	v_lshl_add_u64 v[12:13], v[154:155], 0, s[26:27]
	global_load_dword v207, v[12:13], off
	v_lshl_add_u64 v[12:13], v[158:159], 0, s[26:27]
	global_load_dwordx2 v[12:13], v[12:13], off offset:-4
	v_cvt_f16_u16_sdwa v21, v21 dst_sel:DWORD dst_unused:UNUSED_PAD src0_sel:BYTE_3
	v_pack_b32_f16 v21, v206, v21
	v_pk_fma_f16 v20, v21, v204, v20
	v_pk_fma_f16 v21, v205, v25, v23
	;; [unrolled: 1-line block ×3, first 2 shown]
	v_mul_u32_u24_sdwa v22, v14, s21 dst_sel:DWORD dst_unused:UNUSED_PAD src0_sel:WORD_0 src1_sel:DWORD
	s_waitcnt vmcnt(5)
	v_ashrrev_i32_e32 v23, v196, v208
	v_and_b32_e32 v23, 0xf0f0f0f, v23
	s_waitcnt vmcnt(4)
	v_lshrrev_b32_e32 v25, v195, v17
	v_lshlrev_b32_e32 v25, 4, v25
	v_and_or_b32 v23, v25, 16, v23
	v_lshrrev_b32_e32 v25, v197, v17
	v_lshrrev_b32_e32 v204, v198, v17
	;; [unrolled: 1-line block ×3, first 2 shown]
	v_lshlrev_b32_e32 v25, 12, v25
	v_lshlrev_b32_e32 v204, 20, v204
	;; [unrolled: 1-line block ×3, first 2 shown]
	v_and_or_b32 v25, v25, s17, v23
	v_and_b32_e32 v204, 0x100000, v204
	v_and_b32_e32 v17, 0x10000000, v17
	v_or3_b32 v17, v204, v17, v25
	v_lshrrev_b32_e32 v25, 8, v25
	v_and_b32_e32 v23, 31, v23
	v_and_b32_e32 v25, 31, v25
	v_mul_u32_u24_sdwa v204, v16, s21 dst_sel:DWORD dst_unused:UNUSED_PAD src0_sel:WORD_0 src1_sel:DWORD
	v_mul_u32_u24_sdwa v205, v16, s21 dst_sel:DWORD dst_unused:UNUSED_PAD src0_sel:WORD_1 src1_sel:DWORD
	v_cvt_f16_u16_e32 v16, v23
	v_cvt_f16_u16_e32 v23, v25
	v_pack_b32_f16 v16, v16, v23
	v_pk_fma_f16 v23, v16, v204, v205
	v_and_b32_sdwa v16, v17, v201 dst_sel:DWORD dst_unused:UNUSED_PAD src0_sel:WORD_1 src1_sel:DWORD
	v_cvt_f16_u16_sdwa v25, v17 dst_sel:DWORD dst_unused:UNUSED_PAD src0_sel:BYTE_3
	v_cvt_f16_u16_e32 v206, v16
	v_lshl_add_u64 v[16:17], v[148:149], 0, s[26:27]
	global_load_dword v208, v[16:17], off
	v_lshl_add_u64 v[16:17], v[152:153], 0, s[26:27]
	global_load_dwordx2 v[16:17], v[16:17], off offset:-4
	v_pack_b32_f16 v25, v206, v25
	v_pk_fma_f16 v25, v25, v204, v205
	v_pk_fma_f16 v21, v23, v22, v21
	;; [unrolled: 1-line block ×3, first 2 shown]
	v_mul_u32_u24_sdwa v14, v14, s21 dst_sel:DWORD dst_unused:UNUSED_PAD src0_sel:WORD_1 src1_sel:DWORD
	s_waitcnt vmcnt(5)
	v_ashrrev_i32_e32 v22, v196, v209
	v_and_b32_e32 v22, 0xf0f0f0f, v22
	s_waitcnt vmcnt(4)
	v_lshrrev_b32_e32 v23, v195, v19
	v_lshlrev_b32_e32 v23, 4, v23
	v_and_or_b32 v22, v23, 16, v22
	v_lshrrev_b32_e32 v23, v197, v19
	v_lshrrev_b32_e32 v25, v198, v19
	;; [unrolled: 1-line block ×3, first 2 shown]
	v_lshlrev_b32_e32 v23, 12, v23
	v_lshlrev_b32_e32 v25, 20, v25
	;; [unrolled: 1-line block ×3, first 2 shown]
	v_and_or_b32 v23, v23, s17, v22
	v_and_b32_e32 v25, 0x100000, v25
	v_and_b32_e32 v19, 0x10000000, v19
	v_or3_b32 v19, v25, v19, v23
	v_lshrrev_b32_e32 v23, 8, v23
	v_and_b32_e32 v22, 31, v22
	v_and_b32_e32 v23, 31, v23
	v_mul_u32_u24_sdwa v25, v18, s21 dst_sel:DWORD dst_unused:UNUSED_PAD src0_sel:WORD_0 src1_sel:DWORD
	v_mul_u32_u24_sdwa v204, v18, s21 dst_sel:DWORD dst_unused:UNUSED_PAD src0_sel:WORD_1 src1_sel:DWORD
	v_cvt_f16_u16_e32 v18, v22
	v_cvt_f16_u16_e32 v22, v23
	v_pack_b32_f16 v18, v18, v22
	v_pk_fma_f16 v22, v18, v25, v204
	v_and_b32_sdwa v18, v19, v201 dst_sel:DWORD dst_unused:UNUSED_PAD src0_sel:WORD_1 src1_sel:DWORD
	v_cvt_f16_u16_sdwa v23, v19 dst_sel:DWORD dst_unused:UNUSED_PAD src0_sel:BYTE_3
	v_cvt_f16_u16_e32 v205, v18
	v_lshl_add_u64 v[18:19], v[142:143], 0, s[26:27]
	global_load_dword v206, v[18:19], off
	v_lshl_add_u64 v[18:19], v[146:147], 0, s[26:27]
	global_load_dwordx2 v[18:19], v[18:19], off offset:-4
	v_pack_b32_f16 v23, v205, v23
	v_pk_fma_f16 v23, v23, v25, v204
	v_pk_fma_f16 v21, v22, v14, v21
	;; [unrolled: 1-line block ×3, first 2 shown]
	s_waitcnt vmcnt(5)
	v_ashrrev_i32_e32 v22, v196, v207
	v_and_b32_e32 v22, 0xf0f0f0f, v22
	s_waitcnt vmcnt(4)
	v_lshrrev_b32_e32 v23, v195, v13
	v_lshlrev_b32_e32 v23, 4, v23
	v_and_or_b32 v22, v23, 16, v22
	v_lshrrev_b32_e32 v23, v197, v13
	v_lshrrev_b32_e32 v25, v198, v13
	;; [unrolled: 1-line block ×3, first 2 shown]
	v_lshlrev_b32_e32 v23, 12, v23
	v_lshlrev_b32_e32 v25, 20, v25
	;; [unrolled: 1-line block ×3, first 2 shown]
	v_and_or_b32 v23, v23, s17, v22
	v_and_b32_e32 v25, 0x100000, v25
	v_and_b32_e32 v13, 0x10000000, v13
	v_or3_b32 v13, v25, v13, v23
	v_lshrrev_b32_e32 v23, 8, v23
	v_and_b32_e32 v22, 31, v22
	v_and_b32_e32 v23, 31, v23
	v_mul_u32_u24_sdwa v25, v12, s21 dst_sel:DWORD dst_unused:UNUSED_PAD src0_sel:WORD_0 src1_sel:DWORD
	v_mul_u32_u24_sdwa v204, v12, s21 dst_sel:DWORD dst_unused:UNUSED_PAD src0_sel:WORD_1 src1_sel:DWORD
	v_cvt_f16_u16_e32 v12, v22
	v_cvt_f16_u16_e32 v22, v23
	v_pack_b32_f16 v12, v12, v22
	v_pk_fma_f16 v22, v12, v25, v204
	v_and_b32_sdwa v12, v13, v201 dst_sel:DWORD dst_unused:UNUSED_PAD src0_sel:WORD_1 src1_sel:DWORD
	v_cvt_f16_u16_sdwa v23, v13 dst_sel:DWORD dst_unused:UNUSED_PAD src0_sel:BYTE_3
	v_cvt_f16_u16_e32 v205, v12
	v_lshl_add_u64 v[12:13], v[136:137], 0, s[26:27]
	global_load_dword v207, v[12:13], off
	v_lshl_add_u64 v[12:13], v[140:141], 0, s[26:27]
	global_load_dwordx2 v[12:13], v[12:13], off offset:-4
	v_pack_b32_f16 v23, v205, v23
	v_mul_u32_u24_sdwa v20, v15, s21 dst_sel:DWORD dst_unused:UNUSED_PAD src0_sel:WORD_0 src1_sel:DWORD
	v_pk_fma_f16 v23, v23, v25, v204
	v_pk_fma_f16 v21, v22, v20, v21
	;; [unrolled: 1-line block ×3, first 2 shown]
	v_mul_u32_u24_sdwa v22, v15, s21 dst_sel:DWORD dst_unused:UNUSED_PAD src0_sel:WORD_1 src1_sel:DWORD
	s_waitcnt vmcnt(5)
	v_ashrrev_i32_e32 v14, v196, v208
	v_and_b32_e32 v14, 0xf0f0f0f, v14
	s_waitcnt vmcnt(4)
	v_lshrrev_b32_e32 v15, v195, v17
	v_lshlrev_b32_e32 v15, 4, v15
	v_and_or_b32 v14, v15, 16, v14
	v_lshrrev_b32_e32 v15, v197, v17
	v_lshrrev_b32_e32 v23, v198, v17
	;; [unrolled: 1-line block ×3, first 2 shown]
	v_lshlrev_b32_e32 v15, 12, v15
	v_lshlrev_b32_e32 v23, 20, v23
	;; [unrolled: 1-line block ×3, first 2 shown]
	v_and_or_b32 v15, v15, s17, v14
	v_and_b32_e32 v23, 0x100000, v23
	v_and_b32_e32 v17, 0x10000000, v17
	v_or3_b32 v17, v23, v17, v15
	v_lshrrev_b32_e32 v15, 8, v15
	v_and_b32_e32 v14, 31, v14
	v_and_b32_e32 v15, 31, v15
	v_cvt_f16_u16_e32 v14, v14
	v_cvt_f16_u16_e32 v15, v15
	v_mul_u32_u24_sdwa v23, v16, s21 dst_sel:DWORD dst_unused:UNUSED_PAD src0_sel:WORD_0 src1_sel:DWORD
	v_mul_u32_u24_sdwa v16, v16, s21 dst_sel:DWORD dst_unused:UNUSED_PAD src0_sel:WORD_1 src1_sel:DWORD
	v_pack_b32_f16 v14, v14, v15
	v_pk_fma_f16 v25, v14, v23, v16
	v_and_b32_sdwa v14, v17, v201 dst_sel:DWORD dst_unused:UNUSED_PAD src0_sel:WORD_1 src1_sel:DWORD
	v_cvt_f16_u16_e32 v204, v14
	v_lshl_add_u64 v[14:15], v[130:131], 0, s[26:27]
	v_cvt_f16_u16_sdwa v17, v17 dst_sel:DWORD dst_unused:UNUSED_PAD src0_sel:BYTE_3
	global_load_dword v205, v[14:15], off
	v_lshl_add_u64 v[14:15], v[134:135], 0, s[26:27]
	global_load_dwordx2 v[14:15], v[14:15], off offset:-4
	v_pack_b32_f16 v17, v204, v17
	v_pk_fma_f16 v16, v17, v23, v16
	v_pk_fma_f16 v21, v25, v22, v21
	;; [unrolled: 1-line block ×3, first 2 shown]
	s_waitcnt lgkmcnt(0)
	v_mul_u32_u24_sdwa v22, v8, s21 dst_sel:DWORD dst_unused:UNUSED_PAD src0_sel:WORD_0 src1_sel:DWORD
	s_waitcnt vmcnt(5)
	v_ashrrev_i32_e32 v16, v196, v206
	v_and_b32_e32 v16, 0xf0f0f0f, v16
	s_waitcnt vmcnt(4)
	v_lshrrev_b32_e32 v17, v195, v19
	v_lshlrev_b32_e32 v17, 4, v17
	v_and_or_b32 v16, v17, 16, v16
	v_lshrrev_b32_e32 v17, v197, v19
	v_lshrrev_b32_e32 v23, v198, v19
	;; [unrolled: 1-line block ×3, first 2 shown]
	v_lshlrev_b32_e32 v17, 12, v17
	v_lshlrev_b32_e32 v23, 20, v23
	;; [unrolled: 1-line block ×3, first 2 shown]
	v_and_or_b32 v17, v17, s17, v16
	v_and_b32_e32 v23, 0x100000, v23
	v_and_b32_e32 v19, 0x10000000, v19
	v_or3_b32 v19, v23, v19, v17
	v_lshrrev_b32_e32 v17, 8, v17
	v_and_b32_e32 v16, 31, v16
	v_and_b32_e32 v17, 31, v17
	v_cvt_f16_u16_e32 v16, v16
	v_cvt_f16_u16_e32 v17, v17
	v_mul_u32_u24_sdwa v23, v18, s21 dst_sel:DWORD dst_unused:UNUSED_PAD src0_sel:WORD_0 src1_sel:DWORD
	v_mul_u32_u24_sdwa v18, v18, s21 dst_sel:DWORD dst_unused:UNUSED_PAD src0_sel:WORD_1 src1_sel:DWORD
	v_pack_b32_f16 v16, v16, v17
	v_pk_fma_f16 v25, v16, v23, v18
	v_and_b32_sdwa v16, v19, v201 dst_sel:DWORD dst_unused:UNUSED_PAD src0_sel:WORD_1 src1_sel:DWORD
	v_cvt_f16_u16_e32 v204, v16
	v_lshl_add_u64 v[16:17], v[124:125], 0, s[26:27]
	v_cvt_f16_u16_sdwa v19, v19 dst_sel:DWORD dst_unused:UNUSED_PAD src0_sel:BYTE_3
	global_load_dword v206, v[16:17], off
	v_lshl_add_u64 v[16:17], v[128:129], 0, s[26:27]
	global_load_dwordx2 v[16:17], v[16:17], off offset:-4
	v_pack_b32_f16 v19, v204, v19
	v_pk_fma_f16 v18, v19, v23, v18
	v_pk_fma_f16 v19, v25, v22, v21
	;; [unrolled: 1-line block ×3, first 2 shown]
	s_waitcnt vmcnt(5)
	v_ashrrev_i32_e32 v20, v196, v207
	v_and_b32_e32 v20, 0xf0f0f0f, v20
	s_waitcnt vmcnt(4)
	v_lshrrev_b32_e32 v21, v195, v13
	v_lshlrev_b32_e32 v21, 4, v21
	v_and_or_b32 v20, v21, 16, v20
	v_lshrrev_b32_e32 v21, v197, v13
	v_lshrrev_b32_e32 v22, v198, v13
	;; [unrolled: 1-line block ×3, first 2 shown]
	v_lshlrev_b32_e32 v21, 12, v21
	v_lshlrev_b32_e32 v22, 20, v22
	;; [unrolled: 1-line block ×3, first 2 shown]
	v_and_or_b32 v21, v21, s17, v20
	v_and_b32_e32 v22, 0x100000, v22
	v_and_b32_e32 v13, 0x10000000, v13
	v_or3_b32 v13, v22, v13, v21
	v_lshrrev_b32_e32 v21, 8, v21
	v_and_b32_e32 v20, 31, v20
	v_and_b32_e32 v21, 31, v21
	v_mul_u32_u24_sdwa v22, v12, s21 dst_sel:DWORD dst_unused:UNUSED_PAD src0_sel:WORD_0 src1_sel:DWORD
	v_mul_u32_u24_sdwa v23, v12, s21 dst_sel:DWORD dst_unused:UNUSED_PAD src0_sel:WORD_1 src1_sel:DWORD
	v_cvt_f16_u16_e32 v12, v20
	v_cvt_f16_u16_e32 v20, v21
	v_pack_b32_f16 v12, v12, v20
	v_pk_fma_f16 v20, v12, v22, v23
	v_and_b32_sdwa v12, v13, v201 dst_sel:DWORD dst_unused:UNUSED_PAD src0_sel:WORD_1 src1_sel:DWORD
	v_cvt_f16_u16_sdwa v21, v13 dst_sel:DWORD dst_unused:UNUSED_PAD src0_sel:BYTE_3
	v_cvt_f16_u16_e32 v25, v12
	v_lshl_add_u64 v[12:13], v[118:119], 0, s[26:27]
	global_load_dword v204, v[12:13], off
	v_lshl_add_u64 v[12:13], v[122:123], 0, s[26:27]
	global_load_dwordx2 v[12:13], v[12:13], off offset:-4
	v_pack_b32_f16 v21, v25, v21
	v_mul_u32_u24_sdwa v8, v8, s21 dst_sel:DWORD dst_unused:UNUSED_PAD src0_sel:WORD_1 src1_sel:DWORD
	v_pk_fma_f16 v21, v21, v22, v23
	v_pk_fma_f16 v19, v20, v8, v19
	;; [unrolled: 1-line block ×3, first 2 shown]
	v_mul_u32_u24_sdwa v18, v9, s21 dst_sel:DWORD dst_unused:UNUSED_PAD src0_sel:WORD_0 src1_sel:DWORD
	s_waitcnt vmcnt(5)
	v_ashrrev_i32_e32 v20, v196, v205
	v_and_b32_e32 v20, 0xf0f0f0f, v20
	s_waitcnt vmcnt(4)
	v_lshrrev_b32_e32 v21, v195, v15
	v_lshlrev_b32_e32 v21, 4, v21
	v_and_or_b32 v20, v21, 16, v20
	v_lshrrev_b32_e32 v21, v197, v15
	v_lshrrev_b32_e32 v22, v198, v15
	;; [unrolled: 1-line block ×3, first 2 shown]
	v_lshlrev_b32_e32 v21, 12, v21
	v_lshlrev_b32_e32 v22, 20, v22
	v_lshlrev_b32_e32 v15, 28, v15
	v_and_or_b32 v21, v21, s17, v20
	v_and_b32_e32 v22, 0x100000, v22
	v_and_b32_e32 v15, 0x10000000, v15
	v_or3_b32 v15, v22, v15, v21
	v_lshrrev_b32_e32 v21, 8, v21
	v_and_b32_e32 v20, 31, v20
	v_and_b32_e32 v21, 31, v21
	v_mul_u32_u24_sdwa v22, v14, s21 dst_sel:DWORD dst_unused:UNUSED_PAD src0_sel:WORD_0 src1_sel:DWORD
	v_mul_u32_u24_sdwa v23, v14, s21 dst_sel:DWORD dst_unused:UNUSED_PAD src0_sel:WORD_1 src1_sel:DWORD
	v_cvt_f16_u16_e32 v14, v20
	v_cvt_f16_u16_e32 v20, v21
	v_pack_b32_f16 v14, v14, v20
	v_pk_fma_f16 v20, v14, v22, v23
	v_and_b32_sdwa v14, v15, v201 dst_sel:DWORD dst_unused:UNUSED_PAD src0_sel:WORD_1 src1_sel:DWORD
	v_cvt_f16_u16_sdwa v21, v15 dst_sel:DWORD dst_unused:UNUSED_PAD src0_sel:BYTE_3
	v_cvt_f16_u16_e32 v25, v14
	v_lshl_add_u64 v[14:15], v[112:113], 0, s[26:27]
	global_load_dword v205, v[14:15], off
	v_lshl_add_u64 v[14:15], v[116:117], 0, s[26:27]
	global_load_dwordx2 v[14:15], v[14:15], off offset:-4
	v_pack_b32_f16 v21, v25, v21
	v_pk_fma_f16 v21, v21, v22, v23
	v_pk_fma_f16 v19, v20, v18, v19
	;; [unrolled: 1-line block ×3, first 2 shown]
	v_mul_u32_u24_sdwa v20, v9, s21 dst_sel:DWORD dst_unused:UNUSED_PAD src0_sel:WORD_1 src1_sel:DWORD
	s_waitcnt vmcnt(5)
	v_ashrrev_i32_e32 v8, v196, v206
	v_and_b32_e32 v8, 0xf0f0f0f, v8
	s_waitcnt vmcnt(4)
	v_lshrrev_b32_e32 v9, v195, v17
	v_lshlrev_b32_e32 v9, 4, v9
	v_and_or_b32 v8, v9, 16, v8
	v_lshrrev_b32_e32 v9, v197, v17
	v_lshrrev_b32_e32 v21, v198, v17
	;; [unrolled: 1-line block ×3, first 2 shown]
	v_lshlrev_b32_e32 v9, 12, v9
	v_lshlrev_b32_e32 v21, 20, v21
	;; [unrolled: 1-line block ×3, first 2 shown]
	v_and_or_b32 v9, v9, s17, v8
	v_and_b32_e32 v21, 0x100000, v21
	v_and_b32_e32 v17, 0x10000000, v17
	v_or3_b32 v17, v21, v17, v9
	v_lshrrev_b32_e32 v9, 8, v9
	v_and_b32_e32 v8, 31, v8
	v_and_b32_e32 v9, 31, v9
	v_cvt_f16_u16_e32 v8, v8
	v_cvt_f16_u16_e32 v9, v9
	v_pack_b32_f16 v22, v8, v9
	v_lshl_add_u64 v[8:9], v[106:107], 0, s[26:27]
	global_load_dword v23, v[8:9], off
	v_lshl_add_u64 v[8:9], v[110:111], 0, s[26:27]
	global_load_dwordx2 v[8:9], v[8:9], off offset:-4
	v_and_b32_sdwa v25, v17, v201 dst_sel:DWORD dst_unused:UNUSED_PAD src0_sel:WORD_1 src1_sel:DWORD
	v_cvt_f16_u16_sdwa v17, v17 dst_sel:DWORD dst_unused:UNUSED_PAD src0_sel:BYTE_3
	v_cvt_f16_u16_e32 v25, v25
	v_mul_u32_u24_sdwa v21, v16, s21 dst_sel:DWORD dst_unused:UNUSED_PAD src0_sel:WORD_0 src1_sel:DWORD
	v_mul_u32_u24_sdwa v16, v16, s21 dst_sel:DWORD dst_unused:UNUSED_PAD src0_sel:WORD_1 src1_sel:DWORD
	v_pack_b32_f16 v17, v25, v17
	v_pk_fma_f16 v22, v22, v21, v16
	v_pk_fma_f16 v16, v17, v21, v16
	;; [unrolled: 1-line block ×4, first 2 shown]
	s_waitcnt vmcnt(5)
	v_ashrrev_i32_e32 v16, v196, v204
	v_and_b32_e32 v16, 0xf0f0f0f, v16
	s_waitcnt vmcnt(4)
	v_lshrrev_b32_e32 v17, v195, v13
	v_lshlrev_b32_e32 v17, 4, v17
	v_and_or_b32 v16, v17, 16, v16
	v_lshrrev_b32_e32 v17, v197, v13
	v_lshrrev_b32_e32 v21, v198, v13
	;; [unrolled: 1-line block ×3, first 2 shown]
	v_lshlrev_b32_e32 v17, 12, v17
	v_lshlrev_b32_e32 v21, 20, v21
	;; [unrolled: 1-line block ×3, first 2 shown]
	v_and_or_b32 v17, v17, s17, v16
	v_and_b32_e32 v21, 0x100000, v21
	v_and_b32_e32 v13, 0x10000000, v13
	v_or3_b32 v13, v21, v13, v17
	v_and_b32_e32 v21, 31, v16
	v_lshrrev_b32_e32 v16, 8, v17
	v_and_b32_e32 v22, 31, v16
	v_lshl_add_u64 v[16:17], v[100:101], 0, s[26:27]
	global_load_dword v204, v[16:17], off
	v_lshl_add_u64 v[16:17], v[104:105], 0, s[26:27]
	global_load_dwordx2 v[16:17], v[16:17], off offset:-4
	v_cvt_f16_u16_e32 v21, v21
	v_cvt_f16_u16_e32 v22, v22
	v_pack_b32_f16 v21, v21, v22
	v_and_b32_sdwa v22, v13, v201 dst_sel:DWORD dst_unused:UNUSED_PAD src0_sel:WORD_1 src1_sel:DWORD
	v_cvt_f16_u16_sdwa v13, v13 dst_sel:DWORD dst_unused:UNUSED_PAD src0_sel:BYTE_3
	v_cvt_f16_u16_e32 v22, v22
	v_mul_u32_u24_sdwa v25, v12, s21 dst_sel:DWORD dst_unused:UNUSED_PAD src0_sel:WORD_0 src1_sel:DWORD
	v_mul_u32_u24_sdwa v12, v12, s21 dst_sel:DWORD dst_unused:UNUSED_PAD src0_sel:WORD_1 src1_sel:DWORD
	v_pack_b32_f16 v13, v22, v13
	v_mul_u32_u24_sdwa v20, v10, s21 dst_sel:DWORD dst_unused:UNUSED_PAD src0_sel:WORD_0 src1_sel:DWORD
	v_pk_fma_f16 v21, v21, v25, v12
	v_pk_fma_f16 v12, v13, v25, v12
	;; [unrolled: 1-line block ×4, first 2 shown]
	v_mul_u32_u24_sdwa v10, v10, s21 dst_sel:DWORD dst_unused:UNUSED_PAD src0_sel:WORD_1 src1_sel:DWORD
	s_waitcnt vmcnt(5)
	v_ashrrev_i32_e32 v18, v196, v205
	v_and_b32_e32 v18, 0xf0f0f0f, v18
	s_waitcnt vmcnt(4)
	v_lshrrev_b32_e32 v19, v195, v15
	v_lshlrev_b32_e32 v19, 4, v19
	v_and_or_b32 v18, v19, 16, v18
	v_lshrrev_b32_e32 v19, v197, v15
	v_lshrrev_b32_e32 v20, v198, v15
	;; [unrolled: 1-line block ×3, first 2 shown]
	v_lshlrev_b32_e32 v19, 12, v19
	v_lshlrev_b32_e32 v20, 20, v20
	;; [unrolled: 1-line block ×3, first 2 shown]
	v_and_or_b32 v19, v19, s17, v18
	v_and_b32_e32 v20, 0x100000, v20
	v_and_b32_e32 v15, 0x10000000, v15
	v_or3_b32 v15, v20, v15, v19
	v_lshrrev_b32_e32 v19, 8, v19
	v_and_b32_e32 v18, 31, v18
	v_and_b32_e32 v19, 31, v19
	v_cvt_f16_u16_e32 v18, v18
	v_cvt_f16_u16_e32 v19, v19
	v_pack_b32_f16 v18, v18, v19
	v_and_b32_sdwa v19, v15, v201 dst_sel:DWORD dst_unused:UNUSED_PAD src0_sel:WORD_1 src1_sel:DWORD
	v_cvt_f16_u16_sdwa v15, v15 dst_sel:DWORD dst_unused:UNUSED_PAD src0_sel:BYTE_3
	v_cvt_f16_u16_e32 v19, v19
	v_mul_u32_u24_sdwa v20, v14, s21 dst_sel:DWORD dst_unused:UNUSED_PAD src0_sel:WORD_0 src1_sel:DWORD
	v_mul_u32_u24_sdwa v14, v14, s21 dst_sel:DWORD dst_unused:UNUSED_PAD src0_sel:WORD_1 src1_sel:DWORD
	v_pack_b32_f16 v15, v19, v15
	v_pk_fma_f16 v18, v18, v20, v14
	v_pk_fma_f16 v14, v15, v20, v14
	;; [unrolled: 1-line block ×4, first 2 shown]
	s_waitcnt vmcnt(3)
	v_ashrrev_i32_e32 v14, v196, v23
	s_waitcnt vmcnt(2)
	v_lshrrev_b32_e32 v15, v195, v9
	v_and_b32_e32 v14, 0xf0f0f0f, v14
	v_lshlrev_b32_e32 v15, 4, v15
	v_and_or_b32 v14, v15, 16, v14
	v_lshrrev_b32_e32 v15, v197, v9
	v_lshrrev_b32_e32 v18, v198, v9
	;; [unrolled: 1-line block ×3, first 2 shown]
	v_lshlrev_b32_e32 v15, 12, v15
	v_lshlrev_b32_e32 v18, 20, v18
	;; [unrolled: 1-line block ×3, first 2 shown]
	v_and_or_b32 v15, v15, s17, v14
	v_and_b32_e32 v18, 0x100000, v18
	v_and_b32_e32 v9, 0x10000000, v9
	v_or3_b32 v9, v18, v9, v15
	v_lshrrev_b32_e32 v15, 8, v15
	v_and_b32_e32 v14, 31, v14
	v_and_b32_e32 v15, 31, v15
	v_cvt_f16_u16_e32 v14, v14
	v_cvt_f16_u16_e32 v15, v15
	v_pack_b32_f16 v14, v14, v15
	v_and_b32_sdwa v15, v9, v201 dst_sel:DWORD dst_unused:UNUSED_PAD src0_sel:WORD_1 src1_sel:DWORD
	v_cvt_f16_u16_sdwa v9, v9 dst_sel:DWORD dst_unused:UNUSED_PAD src0_sel:BYTE_3
	v_cvt_f16_u16_e32 v15, v15
	v_mul_u32_u24_sdwa v18, v8, s21 dst_sel:DWORD dst_unused:UNUSED_PAD src0_sel:WORD_0 src1_sel:DWORD
	v_mul_u32_u24_sdwa v8, v8, s21 dst_sel:DWORD dst_unused:UNUSED_PAD src0_sel:WORD_1 src1_sel:DWORD
	v_pack_b32_f16 v9, v15, v9
	v_mul_u32_u24_sdwa v12, v11, s21 dst_sel:DWORD dst_unused:UNUSED_PAD src0_sel:WORD_0 src1_sel:DWORD
	v_pk_fma_f16 v14, v14, v18, v8
	v_pk_fma_f16 v8, v9, v18, v8
	;; [unrolled: 1-line block ×4, first 2 shown]
	s_waitcnt vmcnt(1)
	v_ashrrev_i32_e32 v8, v196, v204
	s_waitcnt vmcnt(0)
	v_lshrrev_b32_e32 v12, v195, v17
	v_and_b32_e32 v8, 0xf0f0f0f, v8
	v_lshlrev_b32_e32 v12, 4, v12
	v_and_or_b32 v8, v12, 16, v8
	v_lshrrev_b32_e32 v12, v197, v17
	v_lshrrev_b32_e32 v13, v198, v17
	;; [unrolled: 1-line block ×3, first 2 shown]
	v_lshlrev_b32_e32 v12, 12, v12
	v_lshlrev_b32_e32 v13, 20, v13
	;; [unrolled: 1-line block ×3, first 2 shown]
	v_and_or_b32 v12, v12, s17, v8
	v_and_b32_e32 v13, 0x100000, v13
	v_and_b32_e32 v14, 0x10000000, v14
	v_or3_b32 v13, v13, v14, v12
	v_lshrrev_b32_e32 v12, 8, v12
	v_and_b32_e32 v8, 31, v8
	v_and_b32_e32 v12, 31, v12
	v_cvt_f16_u16_e32 v8, v8
	v_cvt_f16_u16_e32 v12, v12
	v_pack_b32_f16 v8, v8, v12
	v_and_b32_sdwa v12, v13, v201 dst_sel:DWORD dst_unused:UNUSED_PAD src0_sel:WORD_1 src1_sel:DWORD
	v_cvt_f16_u16_sdwa v13, v13 dst_sel:DWORD dst_unused:UNUSED_PAD src0_sel:BYTE_3
	v_cvt_f16_u16_e32 v12, v12
	v_mul_u32_u24_sdwa v14, v16, s21 dst_sel:DWORD dst_unused:UNUSED_PAD src0_sel:WORD_0 src1_sel:DWORD
	v_mul_u32_u24_sdwa v15, v16, s21 dst_sel:DWORD dst_unused:UNUSED_PAD src0_sel:WORD_1 src1_sel:DWORD
	v_pack_b32_f16 v12, v12, v13
	v_mul_u32_u24_sdwa v11, v11, s21 dst_sel:DWORD dst_unused:UNUSED_PAD src0_sel:WORD_1 src1_sel:DWORD
	v_pk_fma_f16 v8, v8, v14, v15
	v_pk_fma_f16 v12, v12, v14, v15
	;; [unrolled: 1-line block ×4, first 2 shown]
	v_lshl_add_u64 v[56:57], v[56:57], 0, s[38:39]
	v_lshl_add_u64 v[58:59], v[58:59], 0, s[38:39]
	;; [unrolled: 1-line block ×59, first 2 shown]
	s_cmp_ge_i32 s16, s42
	v_lshl_add_u64 v[178:179], v[178:179], 0, s[38:39]
	s_cbranch_scc1 .LBB14_22
; %bb.20:                               ;   in Loop: Header=BB14_11 Depth=1
	v_mov_b32_e32 v9, v203
	s_branch .LBB14_11
.LBB14_21:
	v_mov_b32_e32 v8, 0
	v_mov_b32_e32 v203, 0xfeffffff
	;; [unrolled: 1-line block ×3, first 2 shown]
.LBB14_22:
	s_cmp_lg_u64 s[24:25], 0
	v_or_b32_e32 v0, s3, v180
	s_cselect_b64 s[4:5], -1, 0
	v_cmp_eq_u32_e32 vcc, 0, v0
	s_and_b64 s[6:7], vcc, s[4:5]
	s_and_saveexec_b64 s[4:5], s[6:7]
	s_cbranch_execz .LBB14_24
; %bb.23:
	s_lshl_b64 s[6:7], s[40:41], 2
	s_add_u32 s6, s24, s6
	s_addc_u32 s7, s25, s7
	s_load_dword s6, s[6:7], 0x0
	v_max_f32_e32 v0, v203, v203
	s_mov_b32 s7, 0x3fb8aa3b
	s_mov_b32 s8, 0x42b17218
	s_waitcnt lgkmcnt(0)
	v_max_f32_e64 v1, s6, s6
	v_max_f32_e32 v0, v0, v1
	v_sub_f32_e32 v1, s6, v0
	v_mul_f32_e32 v2, 0x3fb8aa3b, v1
	v_fma_f32 v3, v1, s7, -v2
	v_rndne_f32_e32 v4, v2
	v_fmac_f32_e32 v3, 0x32a5705f, v1
	v_sub_f32_e32 v2, v2, v4
	v_add_f32_e32 v2, v2, v3
	v_cvt_i32_f32_e32 v3, v4
	v_exp_f32_e32 v2, v2
	s_mov_b32 s6, 0xc2ce8ed0
	v_cmp_ngt_f32_e32 vcc, s6, v1
	v_ldexp_f32 v2, v2, v3
	v_sub_f32_e32 v3, v203, v0
	v_mul_f32_e32 v4, 0x3fb8aa3b, v3
	v_fma_f32 v5, v3, s7, -v4
	v_rndne_f32_e32 v6, v4
	v_fmac_f32_e32 v5, 0x32a5705f, v3
	v_sub_f32_e32 v4, v4, v6
	v_add_f32_e32 v4, v4, v5
	v_exp_f32_e32 v4, v4
	v_cvt_i32_f32_e32 v5, v6
	v_cndmask_b32_e32 v2, 0, v2, vcc
	v_mov_b32_e32 v6, 0x7f800000
	v_cmp_nlt_f32_e32 vcc, s8, v1
	v_mov_b32_e32 v203, v0
	s_nop 0
	v_cndmask_b32_e32 v1, v6, v2, vcc
	v_ldexp_f32 v2, v4, v5
	v_cmp_ngt_f32_e32 vcc, s6, v3
	s_nop 1
	v_cndmask_b32_e32 v2, 0, v2, vcc
	v_cmp_nlt_f32_e32 vcc, s8, v3
	s_nop 1
	v_cndmask_b32_e32 v2, v6, v2, vcc
	v_cvt_f16_f32_e32 v3, v2
	v_cmp_eq_u32_e32 vcc, 0, v181
	s_nop 1
	v_cndmask_b32_e32 v1, 0, v1, vcc
	v_fmac_f32_e32 v1, v187, v2
	v_mul_u32_u24_e32 v2, 0x10001, v3
	v_pk_mul_f16 v8, v8, v2
	v_pk_mul_f16 v25, v25, v2
	v_mov_b32_e32 v187, v1
.LBB14_24:
	s_or_b64 exec, exec, s[4:5]
	s_and_saveexec_b64 s[4:5], s[14:15]
; %bb.25:
	v_mov_b32_e32 v0, 0xfeffffff
	v_mov_b32_e32 v1, 0
	v_add_u32_e32 v2, 0x400, v186
	ds_write2_b32 v2, v0, v1 offset1:32
; %bb.26:
	s_or_b64 exec, exec, s[4:5]
	v_cmp_eq_u32_e32 vcc, 0, v181
	v_lshlrev_b32_e32 v1, 2, v180
	s_waitcnt lgkmcnt(0)
	s_barrier
	s_and_saveexec_b64 s[4:5], vcc
; %bb.27:
	ds_write_b32 v1, v203 offset:1024
; %bb.28:
	s_or_b64 exec, exec, s[4:5]
	v_mbcnt_hi_u32_b32 v0, -1, v182
	s_waitcnt lgkmcnt(0)
	s_barrier
	v_and_b32_e32 v2, 0x60, v0
	ds_read_b32 v4, v186 offset:1024
	v_add_u32_e32 v2, 32, v2
	v_xor_b32_e32 v3, 16, v0
	v_cmp_lt_i32_e64 s[4:5], v3, v2
	v_xor_b32_e32 v6, 8, v0
	v_xor_b32_e32 v10, 1, v0
	v_cndmask_b32_e64 v3, v0, v3, s[4:5]
	v_lshlrev_b32_e32 v3, 2, v3
	s_waitcnt lgkmcnt(0)
	ds_bpermute_b32 v5, v3, v4
	v_cmp_lt_i32_e64 s[4:5], v6, v2
	v_max_f32_e32 v4, v4, v4
	v_lshlrev_b32_e32 v12, 3, v181
	v_cndmask_b32_e64 v6, v0, v6, s[4:5]
	s_waitcnt lgkmcnt(0)
	v_max_f32_e32 v5, v5, v5
	v_lshlrev_b32_e32 v6, 2, v6
	v_max_f32_e32 v4, v4, v5
	ds_bpermute_b32 v7, v6, v4
	v_xor_b32_e32 v5, 4, v0
	v_cmp_lt_i32_e64 s[4:5], v5, v2
	s_waitcnt lgkmcnt(0)
	v_max_f32_e32 v7, v7, v7
	v_cndmask_b32_e64 v5, v0, v5, s[4:5]
	v_lshlrev_b32_e32 v5, 2, v5
	v_max_f32_e32 v7, v4, v7
	ds_bpermute_b32 v9, v5, v7
	v_xor_b32_e32 v4, 2, v0
	v_cmp_lt_i32_e64 s[4:5], v4, v2
	s_waitcnt lgkmcnt(0)
	v_max_f32_e32 v9, v9, v9
	v_cndmask_b32_e64 v4, v0, v4, s[4:5]
	v_lshlrev_b32_e32 v4, 2, v4
	v_max_f32_e32 v7, v7, v9
	ds_bpermute_b32 v9, v4, v7
	v_cmp_lt_i32_e64 s[4:5], v10, v2
	s_nop 1
	v_cndmask_b32_e64 v0, v0, v10, s[4:5]
	v_lshlrev_b32_e32 v2, 2, v0
	s_waitcnt lgkmcnt(0)
	v_max_f32_e32 v0, v9, v9
	v_max_f32_e32 v0, v7, v0
	ds_bpermute_b32 v7, v2, v0
	s_mov_b32 s4, 0x3fb8aa3b
	s_waitcnt lgkmcnt(0)
	v_max_f32_e32 v7, v7, v7
	v_max_f32_e32 v0, v0, v7
	v_sub_f32_e32 v7, v203, v0
	v_mul_f32_e32 v9, 0x3fb8aa3b, v7
	v_fma_f32 v10, v7, s4, -v9
	v_rndne_f32_e32 v11, v9
	v_fmamk_f32 v10, v7, 0x32a5705f, v10
	v_sub_f32_e32 v9, v9, v11
	v_add_f32_e32 v9, v9, v10
	v_exp_f32_e32 v9, v9
	v_cvt_i32_f32_e32 v10, v11
	s_mov_b32 s4, 0xc2ce8ed0
	v_cmp_ngt_f32_e64 s[4:5], s4, v7
	v_ldexp_f32 v9, v9, v10
	s_nop 0
	v_cndmask_b32_e64 v9, 0, v9, s[4:5]
	s_mov_b32 s4, 0x42b17218
	v_mov_b32_e32 v10, 0x7f800000
	v_cmp_nlt_f32_e64 s[4:5], s4, v7
	s_nop 1
	v_cndmask_b32_e64 v7, v10, v9, s[4:5]
	v_mul_f32_e32 v9, v187, v7
	ds_bpermute_b32 v9, v3, v9
	s_load_dword s4, s[0:1], 0xd4
	s_waitcnt lgkmcnt(0)
	v_fmac_f32_e32 v9, v187, v7
	ds_bpermute_b32 v10, v6, v9
	v_cvt_f16_f32_e32 v7, v7
	s_waitcnt lgkmcnt(0)
	v_add_f32_e32 v9, v9, v10
	ds_bpermute_b32 v10, v5, v9
	v_mul_u32_u24_e32 v11, 0x10001, v7
	s_waitcnt lgkmcnt(0)
	v_add_f32_e32 v9, v9, v10
	ds_bpermute_b32 v10, v4, v9
	s_waitcnt lgkmcnt(0)
	v_add_f32_e32 v7, v9, v10
	ds_bpermute_b32 v9, v2, v7
	v_pk_mul_f16 v10, v8, v11
	v_pk_mul_f16 v11, v25, v11
	v_lshl_add_u32 v8, v180, 8, v12
	ds_write_b64 v8, v[10:11]
	s_and_saveexec_b64 s[0:1], vcc
	s_cbranch_execz .LBB14_30
; %bb.29:
	s_waitcnt lgkmcnt(1)
	v_add_f32_e32 v7, v7, v9
	ds_write_b32 v1, v7 offset:1152
.LBB14_30:
	s_or_b64 exec, exec, s[0:1]
	s_waitcnt lgkmcnt(0)
	s_barrier
	ds_read_b32 v1, v186 offset:1152
	ds_read_u16 v12, v185 offset:768
	ds_read_u16 v8, v185
	ds_read_u16 v11, v185 offset:256
	ds_read_u16 v13, v185 offset:512
	s_mul_i32 s0, s33, s34
	s_add_i32 s0, s0, s2
	s_waitcnt lgkmcnt(4)
	ds_bpermute_b32 v3, v3, v1
	s_mul_i32 s0, s0, s35
	s_add_i32 s0, s0, s40
	s_mul_i32 s0, s4, s0
	s_add_i32 s0, s0, s3
	s_waitcnt lgkmcnt(0)
	v_add_f32_e32 v7, v1, v3
	ds_bpermute_b32 v9, v6, v7
	v_cvt_f32_f16_e32 v6, v8
	v_mov_b32_e32 v3, 0
	v_mov_b32_e32 v8, v3
	;; [unrolled: 1-line block ×3, first 2 shown]
	s_waitcnt lgkmcnt(0)
	v_pk_add_f32 v[6:7], v[6:7], v[8:9]
	ds_bpermute_b32 v9, v5, v7
	v_cvt_f32_f16_e32 v8, v11
	v_mov_b32_e32 v11, s29
	s_cmp_eq_u32 s4, 1
	s_waitcnt lgkmcnt(0)
	v_pk_add_f32 v[6:7], v[6:7], v[8:9]
	ds_bpermute_b32 v5, v4, v7
	v_cvt_f32_f16_e32 v4, v13
	s_waitcnt lgkmcnt(0)
	v_pk_add_f32 v[4:5], v[6:7], v[4:5]
	ds_bpermute_b32 v7, v2, v5
	v_cvt_f32_f16_e32 v6, v12
	v_lshl_or_b32 v2, s0, 7, v183
	s_waitcnt lgkmcnt(0)
	v_pk_add_f32 v[4:5], v[4:5], v[6:7]
	s_nop 0
	v_div_scale_f32 v1, s[2:3], v5, v5, v4
	v_rcp_f32_e32 v8, v1
	v_lshl_add_u64 v[6:7], v[2:3], 2, v[10:11]
	v_div_scale_f32 v2, vcc, v4, v5, v4
	v_fma_f32 v9, -v1, v8, 1.0
	v_fmac_f32_e32 v8, v9, v8
	v_mul_f32_e32 v9, v2, v8
	v_fma_f32 v10, -v1, v9, v2
	v_fmac_f32_e32 v9, v10, v8
	v_fma_f32 v1, -v1, v9, v2
	v_div_fmas_f32 v1, v1, v8, v9
	v_div_fixup_f32 v1, v1, v5, v4
	s_cselect_b64 vcc, -1, 0
	s_cmp_lg_u32 s4, 1
	v_cndmask_b32_e32 v1, v4, v1, vcc
	s_cselect_b64 s[2:3], -1, 0
	v_cmp_eq_u32_e32 vcc, 0, v183
	s_and_b64 s[2:3], vcc, s[2:3]
	global_store_dword v[6:7], v1, off
	s_and_saveexec_b64 s[4:5], s[2:3]
	s_cbranch_execz .LBB14_32
; %bb.31:
	s_mov_b32 s1, 0
	s_lshl_b64 s[0:1], s[0:1], 3
	s_add_u32 s0, s30, s0
	s_addc_u32 s1, s31, s1
	v_mov_b32_e32 v1, v5
	global_store_dwordx2 v3, v[0:1], s[0:1]
.LBB14_32:
	s_endpgm
	.section	.rodata,"a",@progbits
	.p2align	6, 0x0
	.amdhsa_kernel _ZL18flash_attn_ext_vecILi128ELi1EL9ggml_type7ELS0_7ELb0EEvPKcS2_S2_S2_S2_PKiPfP15HIP_vector_typeIfLj2EEffffjfiS6_IjLj3EEiiiiiiiiiiiliiliiiiil
		.amdhsa_group_segment_fixed_size 1280
		.amdhsa_private_segment_fixed_size 0
		.amdhsa_kernarg_size 464
		.amdhsa_user_sgpr_count 2
		.amdhsa_user_sgpr_dispatch_ptr 0
		.amdhsa_user_sgpr_queue_ptr 0
		.amdhsa_user_sgpr_kernarg_segment_ptr 1
		.amdhsa_user_sgpr_dispatch_id 0
		.amdhsa_user_sgpr_kernarg_preload_length 0
		.amdhsa_user_sgpr_kernarg_preload_offset 0
		.amdhsa_user_sgpr_private_segment_size 0
		.amdhsa_uses_dynamic_stack 0
		.amdhsa_enable_private_segment 0
		.amdhsa_system_sgpr_workgroup_id_x 1
		.amdhsa_system_sgpr_workgroup_id_y 1
		.amdhsa_system_sgpr_workgroup_id_z 1
		.amdhsa_system_sgpr_workgroup_info 0
		.amdhsa_system_vgpr_workitem_id 1
		.amdhsa_next_free_vgpr 231
		.amdhsa_next_free_sgpr 58
		.amdhsa_accum_offset 232
		.amdhsa_reserve_vcc 1
		.amdhsa_float_round_mode_32 0
		.amdhsa_float_round_mode_16_64 0
		.amdhsa_float_denorm_mode_32 3
		.amdhsa_float_denorm_mode_16_64 3
		.amdhsa_dx10_clamp 1
		.amdhsa_ieee_mode 1
		.amdhsa_fp16_overflow 0
		.amdhsa_tg_split 0
		.amdhsa_exception_fp_ieee_invalid_op 0
		.amdhsa_exception_fp_denorm_src 0
		.amdhsa_exception_fp_ieee_div_zero 0
		.amdhsa_exception_fp_ieee_overflow 0
		.amdhsa_exception_fp_ieee_underflow 0
		.amdhsa_exception_fp_ieee_inexact 0
		.amdhsa_exception_int_div_zero 0
	.end_amdhsa_kernel
	.section	.text._ZL18flash_attn_ext_vecILi128ELi1EL9ggml_type7ELS0_7ELb0EEvPKcS2_S2_S2_S2_PKiPfP15HIP_vector_typeIfLj2EEffffjfiS6_IjLj3EEiiiiiiiiiiiliiliiiiil,"axG",@progbits,_ZL18flash_attn_ext_vecILi128ELi1EL9ggml_type7ELS0_7ELb0EEvPKcS2_S2_S2_S2_PKiPfP15HIP_vector_typeIfLj2EEffffjfiS6_IjLj3EEiiiiiiiiiiiliiliiiiil,comdat
.Lfunc_end14:
	.size	_ZL18flash_attn_ext_vecILi128ELi1EL9ggml_type7ELS0_7ELb0EEvPKcS2_S2_S2_S2_PKiPfP15HIP_vector_typeIfLj2EEffffjfiS6_IjLj3EEiiiiiiiiiiiliiliiiiil, .Lfunc_end14-_ZL18flash_attn_ext_vecILi128ELi1EL9ggml_type7ELS0_7ELb0EEvPKcS2_S2_S2_S2_PKiPfP15HIP_vector_typeIfLj2EEffffjfiS6_IjLj3EEiiiiiiiiiiiliiliiiiil
                                        ; -- End function
	.set _ZL18flash_attn_ext_vecILi128ELi1EL9ggml_type7ELS0_7ELb0EEvPKcS2_S2_S2_S2_PKiPfP15HIP_vector_typeIfLj2EEffffjfiS6_IjLj3EEiiiiiiiiiiiliiliiiiil.num_vgpr, 231
	.set _ZL18flash_attn_ext_vecILi128ELi1EL9ggml_type7ELS0_7ELb0EEvPKcS2_S2_S2_S2_PKiPfP15HIP_vector_typeIfLj2EEffffjfiS6_IjLj3EEiiiiiiiiiiiliiliiiiil.num_agpr, 0
	.set _ZL18flash_attn_ext_vecILi128ELi1EL9ggml_type7ELS0_7ELb0EEvPKcS2_S2_S2_S2_PKiPfP15HIP_vector_typeIfLj2EEffffjfiS6_IjLj3EEiiiiiiiiiiiliiliiiiil.numbered_sgpr, 58
	.set _ZL18flash_attn_ext_vecILi128ELi1EL9ggml_type7ELS0_7ELb0EEvPKcS2_S2_S2_S2_PKiPfP15HIP_vector_typeIfLj2EEffffjfiS6_IjLj3EEiiiiiiiiiiiliiliiiiil.num_named_barrier, 0
	.set _ZL18flash_attn_ext_vecILi128ELi1EL9ggml_type7ELS0_7ELb0EEvPKcS2_S2_S2_S2_PKiPfP15HIP_vector_typeIfLj2EEffffjfiS6_IjLj3EEiiiiiiiiiiiliiliiiiil.private_seg_size, 0
	.set _ZL18flash_attn_ext_vecILi128ELi1EL9ggml_type7ELS0_7ELb0EEvPKcS2_S2_S2_S2_PKiPfP15HIP_vector_typeIfLj2EEffffjfiS6_IjLj3EEiiiiiiiiiiiliiliiiiil.uses_vcc, 1
	.set _ZL18flash_attn_ext_vecILi128ELi1EL9ggml_type7ELS0_7ELb0EEvPKcS2_S2_S2_S2_PKiPfP15HIP_vector_typeIfLj2EEffffjfiS6_IjLj3EEiiiiiiiiiiiliiliiiiil.uses_flat_scratch, 0
	.set _ZL18flash_attn_ext_vecILi128ELi1EL9ggml_type7ELS0_7ELb0EEvPKcS2_S2_S2_S2_PKiPfP15HIP_vector_typeIfLj2EEffffjfiS6_IjLj3EEiiiiiiiiiiiliiliiiiil.has_dyn_sized_stack, 0
	.set _ZL18flash_attn_ext_vecILi128ELi1EL9ggml_type7ELS0_7ELb0EEvPKcS2_S2_S2_S2_PKiPfP15HIP_vector_typeIfLj2EEffffjfiS6_IjLj3EEiiiiiiiiiiiliiliiiiil.has_recursion, 0
	.set _ZL18flash_attn_ext_vecILi128ELi1EL9ggml_type7ELS0_7ELb0EEvPKcS2_S2_S2_S2_PKiPfP15HIP_vector_typeIfLj2EEffffjfiS6_IjLj3EEiiiiiiiiiiiliiliiiiil.has_indirect_call, 0
	.section	.AMDGPU.csdata,"",@progbits
; Kernel info:
; codeLenInByte = 19196
; TotalNumSgprs: 64
; NumVgprs: 231
; NumAgprs: 0
; TotalNumVgprs: 231
; ScratchSize: 0
; MemoryBound: 0
; FloatMode: 240
; IeeeMode: 1
; LDSByteSize: 1280 bytes/workgroup (compile time only)
; SGPRBlocks: 7
; VGPRBlocks: 28
; NumSGPRsForWavesPerEU: 64
; NumVGPRsForWavesPerEU: 231
; AccumOffset: 232
; Occupancy: 2
; WaveLimiterHint : 0
; COMPUTE_PGM_RSRC2:SCRATCH_EN: 0
; COMPUTE_PGM_RSRC2:USER_SGPR: 2
; COMPUTE_PGM_RSRC2:TRAP_HANDLER: 0
; COMPUTE_PGM_RSRC2:TGID_X_EN: 1
; COMPUTE_PGM_RSRC2:TGID_Y_EN: 1
; COMPUTE_PGM_RSRC2:TGID_Z_EN: 1
; COMPUTE_PGM_RSRC2:TIDIG_COMP_CNT: 1
; COMPUTE_PGM_RSRC3_GFX90A:ACCUM_OFFSET: 57
; COMPUTE_PGM_RSRC3_GFX90A:TG_SPLIT: 0
	.section	.text._ZL33flash_attn_stream_k_fixup_uniformILi128ELi1ELi1EEvPfPK15HIP_vector_typeIfLj2EEiiiiiiS1_IjLj3EES5_S5_,"axG",@progbits,_ZL33flash_attn_stream_k_fixup_uniformILi128ELi1ELi1EEvPfPK15HIP_vector_typeIfLj2EEiiiiiiS1_IjLj3EES5_S5_,comdat
	.globl	_ZL33flash_attn_stream_k_fixup_uniformILi128ELi1ELi1EEvPfPK15HIP_vector_typeIfLj2EEiiiiiiS1_IjLj3EES5_S5_ ; -- Begin function _ZL33flash_attn_stream_k_fixup_uniformILi128ELi1ELi1EEvPfPK15HIP_vector_typeIfLj2EEiiiiiiS1_IjLj3EES5_S5_
	.p2align	8
	.type	_ZL33flash_attn_stream_k_fixup_uniformILi128ELi1ELi1EEvPfPK15HIP_vector_typeIfLj2EEiiiiiiS1_IjLj3EES5_S5_,@function
_ZL33flash_attn_stream_k_fixup_uniformILi128ELi1ELi1EEvPfPK15HIP_vector_typeIfLj2EEiiiiiiS1_IjLj3EES5_S5_: ; @_ZL33flash_attn_stream_k_fixup_uniformILi128ELi1ELi1EEvPfPK15HIP_vector_typeIfLj2EEiiiiiiS1_IjLj3EES5_S5_
; %bb.0:
	s_load_dwordx8 s[8:15], s[0:1], 0x1c
	s_load_dwordx2 s[6:7], s[0:1], 0x10
	s_load_dwordx4 s[16:19], s[0:1], 0x3c
	s_waitcnt lgkmcnt(0)
	s_mul_hi_u32 s5, s11, s2
	s_add_i32 s5, s2, s5
	s_lshr_b32 s5, s5, s12
	s_mul_i32 s11, s5, s13
	s_sub_i32 s12, s2, s11
	s_mul_hi_u32 s11, s12, s14
	s_add_i32 s11, s12, s11
	s_lshr_b32 s11, s11, s15
	s_mul_i32 s13, s11, s16
	s_sub_i32 s12, s12, s13
	;; [unrolled: 5-line block ×3, first 2 shown]
	s_add_i32 s17, s17, s3
	s_cmp_lt_i32 s17, s6
	s_cselect_b64 s[12:13], -1, 0
	s_add_i32 s16, s16, s4
	s_cmp_lt_i32 s16, s9
	s_cselect_b64 s[14:15], -1, 0
	s_and_b64 s[12:13], s[12:13], s[14:15]
	s_andn2_b64 vcc, exec, s[12:13]
	s_cbranch_vccnz .LBB15_6
; %bb.1:
	s_load_dwordx4 s[12:15], s[0:1], 0x0
	s_mul_i32 s5, s5, s6
	s_mul_i32 s11, s11, s9
	s_add_i32 s0, s17, s5
	s_mul_i32 s0, s0, s7
	s_add_i32 s1, s16, s11
	s_add_i32 s1, s1, s0
	v_lshl_or_b32 v4, s1, 7, v0
	s_waitcnt lgkmcnt(0)
	v_mov_b32_e32 v2, s12
	v_mov_b32_e32 v3, s13
	v_ashrrev_i32_e32 v5, 31, v4
	v_lshl_add_u64 v[2:3], v[4:5], 2, v[2:3]
	global_load_dword v5, v[2:3], off
	s_add_i32 s6, s3, s4
	s_mul_i32 s4, s10, s2
	s_add_i32 s5, s4, s10
	s_add_i32 s7, s6, s5
	s_add_i32 s0, s7, -1
	s_ashr_i32 s1, s0, 31
	s_lshl_b64 s[0:1], s[0:1], 3
	s_add_u32 s0, s14, s0
	s_addc_u32 s1, s15, s1
	s_load_dword s9, s[0:1], 0x4
	s_add_i32 s2, s5, -2
	s_cmp_lt_i32 s2, s4
	s_cbranch_scc1 .LBB15_4
; %bb.2:
	s_load_dword s0, s[0:1], 0x0
	s_lshl_b32 s2, s8, 2
	s_ashr_i32 s3, s2, 31
	s_lshl_b64 s[2:3], s[2:3], 2
	s_add_u32 s2, s14, s2
	v_lshl_or_b32 v0, s7, 7, v0
	s_addc_u32 s3, s15, s3
	s_add_i32 s5, s5, -1
	s_add_i32 s6, s6, s8
	v_add_u32_e32 v0, 0xffffff00, v0
	s_waitcnt lgkmcnt(0)
	v_mov_b32_e32 v6, s0
	v_mov_b32_e32 v4, s9
	s_mov_b32 s7, 0x3fb8aa3b
	s_mov_b32 s8, 0xc2ce8ed0
	;; [unrolled: 1-line block ×3, first 2 shown]
	v_mov_b32_e32 v7, 0x7f800000
	s_mov_b32 s10, 0xc1a00000
.LBB15_3:                               ; =>This Inner Loop Header: Depth=1
	v_ashrrev_i32_e32 v1, 31, v0
	v_lshl_add_u64 v[8:9], v[0:1], 2, s[2:3]
	global_load_dword v9, v[8:9], off
	s_add_i32 s5, s5, -1
	s_add_i32 s0, s5, s6
	s_ashr_i32 s1, s0, 31
	s_lshl_b64 s[0:1], s[0:1], 3
	s_add_u32 s0, s14, s0
	s_addc_u32 s1, s15, s1
	s_load_dwordx2 s[0:1], s[0:1], 0x0
	v_max_f32_e32 v1, v6, v6
	v_add_u32_e32 v0, 0xffffff80, v0
	s_cmp_le_i32 s5, s4
	s_waitcnt lgkmcnt(0)
	v_max_f32_e64 v10, s0, s0
	v_max_f32_e32 v1, v1, v10
	v_sub_f32_e32 v11, s0, v1
	v_sub_f32_e32 v10, v6, v1
	v_mul_f32_e32 v12, 0x3fb8aa3b, v11
	v_mov_b32_e32 v6, v1
	v_mul_f32_e32 v1, 0x3fb8aa3b, v10
	v_fma_f32 v15, v11, s7, -v12
	v_rndne_f32_e32 v16, v12
	v_fma_f32 v13, v10, s7, -v1
	v_rndne_f32_e32 v14, v1
	v_fmac_f32_e32 v15, 0x32a5705f, v11
	v_sub_f32_e32 v12, v12, v16
	v_fmac_f32_e32 v13, 0x32a5705f, v10
	v_sub_f32_e32 v1, v1, v14
	v_add_f32_e32 v12, v12, v15
	v_cvt_i32_f32_e32 v16, v16
	v_add_f32_e32 v1, v1, v13
	v_exp_f32_e32 v12, v12
	v_cvt_i32_f32_e32 v14, v14
	v_exp_f32_e32 v1, v1
	v_cmp_ngt_f32_e32 vcc, s8, v11
	v_ldexp_f32 v12, v12, v16
	v_mov_b32_e32 v8, s1
	v_ldexp_f32 v1, v1, v14
	v_cmp_ngt_f32_e64 s[0:1], s8, v10
	v_cndmask_b32_e32 v12, 0, v12, vcc
	v_cmp_nlt_f32_e32 vcc, s9, v11
	v_cndmask_b32_e64 v1, 0, v1, s[0:1]
	v_cmp_nlt_f32_e64 s[0:1], s9, v10
	v_cndmask_b32_e32 v12, v7, v12, vcc
	v_cmp_le_f32_e32 vcc, s10, v11
	v_cndmask_b32_e64 v1, v7, v1, s[0:1]
	v_cmp_le_f32_e64 s[0:1], s10, v10
	v_cndmask_b32_e32 v12, 0, v12, vcc
	s_waitcnt vmcnt(0)
	v_pk_mul_f32 v[8:9], v[8:9], v[12:13] op_sel_hi:[1,0]
	v_cndmask_b32_e64 v10, 0, v1, s[0:1]
	v_pk_fma_f32 v[4:5], v[4:5], v[10:11], v[8:9] op_sel_hi:[1,0,1]
	s_cbranch_scc0 .LBB15_3
	s_branch .LBB15_5
.LBB15_4:
	s_waitcnt lgkmcnt(0)
	v_mov_b32_e32 v4, s9
.LBB15_5:
	s_waitcnt vmcnt(0)
	v_div_scale_f32 v0, s[0:1], v4, v4, v5
	v_rcp_f32_e32 v1, v0
	v_div_scale_f32 v6, vcc, v5, v4, v5
	v_fma_f32 v7, -v0, v1, 1.0
	v_fmac_f32_e32 v1, v7, v1
	v_mul_f32_e32 v7, v6, v1
	v_fma_f32 v8, -v0, v7, v6
	v_fmac_f32_e32 v7, v8, v1
	v_fma_f32 v0, -v0, v7, v6
	v_div_fmas_f32 v0, v0, v1, v7
	v_div_fixup_f32 v0, v0, v4, v5
	global_store_dword v[2:3], v0, off
.LBB15_6:
	s_endpgm
	.section	.rodata,"a",@progbits
	.p2align	6, 0x0
	.amdhsa_kernel _ZL33flash_attn_stream_k_fixup_uniformILi128ELi1ELi1EEvPfPK15HIP_vector_typeIfLj2EEiiiiiiS1_IjLj3EES5_S5_
		.amdhsa_group_segment_fixed_size 0
		.amdhsa_private_segment_fixed_size 0
		.amdhsa_kernarg_size 76
		.amdhsa_user_sgpr_count 2
		.amdhsa_user_sgpr_dispatch_ptr 0
		.amdhsa_user_sgpr_queue_ptr 0
		.amdhsa_user_sgpr_kernarg_segment_ptr 1
		.amdhsa_user_sgpr_dispatch_id 0
		.amdhsa_user_sgpr_kernarg_preload_length 0
		.amdhsa_user_sgpr_kernarg_preload_offset 0
		.amdhsa_user_sgpr_private_segment_size 0
		.amdhsa_uses_dynamic_stack 0
		.amdhsa_enable_private_segment 0
		.amdhsa_system_sgpr_workgroup_id_x 1
		.amdhsa_system_sgpr_workgroup_id_y 1
		.amdhsa_system_sgpr_workgroup_id_z 1
		.amdhsa_system_sgpr_workgroup_info 0
		.amdhsa_system_vgpr_workitem_id 0
		.amdhsa_next_free_vgpr 17
		.amdhsa_next_free_sgpr 20
		.amdhsa_accum_offset 20
		.amdhsa_reserve_vcc 1
		.amdhsa_float_round_mode_32 0
		.amdhsa_float_round_mode_16_64 0
		.amdhsa_float_denorm_mode_32 3
		.amdhsa_float_denorm_mode_16_64 3
		.amdhsa_dx10_clamp 1
		.amdhsa_ieee_mode 1
		.amdhsa_fp16_overflow 0
		.amdhsa_tg_split 0
		.amdhsa_exception_fp_ieee_invalid_op 0
		.amdhsa_exception_fp_denorm_src 0
		.amdhsa_exception_fp_ieee_div_zero 0
		.amdhsa_exception_fp_ieee_overflow 0
		.amdhsa_exception_fp_ieee_underflow 0
		.amdhsa_exception_fp_ieee_inexact 0
		.amdhsa_exception_int_div_zero 0
	.end_amdhsa_kernel
	.section	.text._ZL33flash_attn_stream_k_fixup_uniformILi128ELi1ELi1EEvPfPK15HIP_vector_typeIfLj2EEiiiiiiS1_IjLj3EES5_S5_,"axG",@progbits,_ZL33flash_attn_stream_k_fixup_uniformILi128ELi1ELi1EEvPfPK15HIP_vector_typeIfLj2EEiiiiiiS1_IjLj3EES5_S5_,comdat
.Lfunc_end15:
	.size	_ZL33flash_attn_stream_k_fixup_uniformILi128ELi1ELi1EEvPfPK15HIP_vector_typeIfLj2EEiiiiiiS1_IjLj3EES5_S5_, .Lfunc_end15-_ZL33flash_attn_stream_k_fixup_uniformILi128ELi1ELi1EEvPfPK15HIP_vector_typeIfLj2EEiiiiiiS1_IjLj3EES5_S5_
                                        ; -- End function
	.set _ZL33flash_attn_stream_k_fixup_uniformILi128ELi1ELi1EEvPfPK15HIP_vector_typeIfLj2EEiiiiiiS1_IjLj3EES5_S5_.num_vgpr, 17
	.set _ZL33flash_attn_stream_k_fixup_uniformILi128ELi1ELi1EEvPfPK15HIP_vector_typeIfLj2EEiiiiiiS1_IjLj3EES5_S5_.num_agpr, 0
	.set _ZL33flash_attn_stream_k_fixup_uniformILi128ELi1ELi1EEvPfPK15HIP_vector_typeIfLj2EEiiiiiiS1_IjLj3EES5_S5_.numbered_sgpr, 20
	.set _ZL33flash_attn_stream_k_fixup_uniformILi128ELi1ELi1EEvPfPK15HIP_vector_typeIfLj2EEiiiiiiS1_IjLj3EES5_S5_.num_named_barrier, 0
	.set _ZL33flash_attn_stream_k_fixup_uniformILi128ELi1ELi1EEvPfPK15HIP_vector_typeIfLj2EEiiiiiiS1_IjLj3EES5_S5_.private_seg_size, 0
	.set _ZL33flash_attn_stream_k_fixup_uniformILi128ELi1ELi1EEvPfPK15HIP_vector_typeIfLj2EEiiiiiiS1_IjLj3EES5_S5_.uses_vcc, 1
	.set _ZL33flash_attn_stream_k_fixup_uniformILi128ELi1ELi1EEvPfPK15HIP_vector_typeIfLj2EEiiiiiiS1_IjLj3EES5_S5_.uses_flat_scratch, 0
	.set _ZL33flash_attn_stream_k_fixup_uniformILi128ELi1ELi1EEvPfPK15HIP_vector_typeIfLj2EEiiiiiiS1_IjLj3EES5_S5_.has_dyn_sized_stack, 0
	.set _ZL33flash_attn_stream_k_fixup_uniformILi128ELi1ELi1EEvPfPK15HIP_vector_typeIfLj2EEiiiiiiS1_IjLj3EES5_S5_.has_recursion, 0
	.set _ZL33flash_attn_stream_k_fixup_uniformILi128ELi1ELi1EEvPfPK15HIP_vector_typeIfLj2EEiiiiiiS1_IjLj3EES5_S5_.has_indirect_call, 0
	.section	.AMDGPU.csdata,"",@progbits
; Kernel info:
; codeLenInByte = 756
; TotalNumSgprs: 26
; NumVgprs: 17
; NumAgprs: 0
; TotalNumVgprs: 17
; ScratchSize: 0
; MemoryBound: 0
; FloatMode: 240
; IeeeMode: 1
; LDSByteSize: 0 bytes/workgroup (compile time only)
; SGPRBlocks: 3
; VGPRBlocks: 2
; NumSGPRsForWavesPerEU: 26
; NumVGPRsForWavesPerEU: 17
; AccumOffset: 20
; Occupancy: 8
; WaveLimiterHint : 0
; COMPUTE_PGM_RSRC2:SCRATCH_EN: 0
; COMPUTE_PGM_RSRC2:USER_SGPR: 2
; COMPUTE_PGM_RSRC2:TRAP_HANDLER: 0
; COMPUTE_PGM_RSRC2:TGID_X_EN: 1
; COMPUTE_PGM_RSRC2:TGID_Y_EN: 1
; COMPUTE_PGM_RSRC2:TGID_Z_EN: 1
; COMPUTE_PGM_RSRC2:TIDIG_COMP_CNT: 0
; COMPUTE_PGM_RSRC3_GFX90A:ACCUM_OFFSET: 4
; COMPUTE_PGM_RSRC3_GFX90A:TG_SPLIT: 0
	.section	.text._ZL33flash_attn_stream_k_fixup_generalILi128ELi1ELi1EEvPfPK15HIP_vector_typeIfLj2EEiiiiS1_IjLj3EES5_S5_S5_,"axG",@progbits,_ZL33flash_attn_stream_k_fixup_generalILi128ELi1ELi1EEvPfPK15HIP_vector_typeIfLj2EEiiiiS1_IjLj3EES5_S5_S5_,comdat
	.globl	_ZL33flash_attn_stream_k_fixup_generalILi128ELi1ELi1EEvPfPK15HIP_vector_typeIfLj2EEiiiiS1_IjLj3EES5_S5_S5_ ; -- Begin function _ZL33flash_attn_stream_k_fixup_generalILi128ELi1ELi1EEvPfPK15HIP_vector_typeIfLj2EEiiiiS1_IjLj3EES5_S5_S5_
	.p2align	8
	.type	_ZL33flash_attn_stream_k_fixup_generalILi128ELi1ELi1EEvPfPK15HIP_vector_typeIfLj2EEiiiiS1_IjLj3EES5_S5_S5_,@function
_ZL33flash_attn_stream_k_fixup_generalILi128ELi1ELi1EEvPfPK15HIP_vector_typeIfLj2EEiiiiS1_IjLj3EES5_S5_S5_: ; @_ZL33flash_attn_stream_k_fixup_generalILi128ELi1ELi1EEvPfPK15HIP_vector_typeIfLj2EEiiiiS1_IjLj3EES5_S5_S5_
; %bb.0:
	s_load_dwordx4 s[8:11], s[0:1], 0x10
	s_load_dword s22, s[0:1], 0x50
	s_mov_b32 s12, 0
	s_waitcnt lgkmcnt(0)
	s_mul_hi_i32 s13, s11, s2
	s_cmp_lg_u64 s[12:13], 0
	s_mul_i32 s5, s11, s2
	s_cbranch_scc0 .LBB16_20
; %bb.1:
	s_add_u32 s6, s22, 0
	s_addc_u32 s7, 0, 0
	s_xor_b64 s[6:7], s[6:7], 0
	v_cvt_f32_u32_e32 v1, s6
	v_cvt_f32_u32_e32 v2, s7
	s_sub_u32 s12, 0, s6
	s_subb_u32 s18, 0, s7
	v_fmamk_f32 v1, v2, 0x4f800000, v1
	v_rcp_f32_e32 v1, v1
	s_nop 0
	v_mul_f32_e32 v1, 0x5f7ffffc, v1
	v_mul_f32_e32 v2, 0x2f800000, v1
	v_trunc_f32_e32 v2, v2
	v_fmamk_f32 v1, v2, 0xcf800000, v1
	v_cvt_u32_f32_e32 v2, v2
	v_cvt_u32_f32_e32 v1, v1
	v_readfirstlane_b32 s19, v2
	v_readfirstlane_b32 s14, v1
	s_mul_i32 s15, s12, s19
	s_mul_hi_u32 s21, s12, s14
	s_mul_i32 s20, s18, s14
	s_add_i32 s15, s21, s15
	s_add_i32 s15, s15, s20
	s_mul_i32 s23, s12, s14
	s_mul_i32 s21, s14, s15
	s_mul_hi_u32 s24, s14, s23
	s_mul_hi_u32 s20, s14, s15
	s_add_u32 s21, s24, s21
	s_addc_u32 s20, 0, s20
	s_mul_hi_u32 s25, s19, s23
	s_mul_i32 s23, s19, s23
	s_add_u32 s21, s21, s23
	s_mul_hi_u32 s24, s19, s15
	s_addc_u32 s20, s20, s25
	s_addc_u32 s21, s24, 0
	s_mul_i32 s15, s19, s15
	s_add_u32 s15, s20, s15
	s_addc_u32 s20, 0, s21
	s_add_u32 s21, s14, s15
	s_cselect_b64 s[14:15], -1, 0
	s_cmp_lg_u64 s[14:15], 0
	s_addc_u32 s19, s19, s20
	s_mul_i32 s14, s12, s19
	s_mul_hi_u32 s15, s12, s21
	s_add_i32 s14, s15, s14
	s_mul_i32 s18, s18, s21
	s_add_i32 s14, s14, s18
	s_mul_i32 s12, s12, s21
	s_mul_hi_u32 s18, s19, s12
	s_mul_i32 s20, s19, s12
	s_mul_i32 s24, s21, s14
	s_mul_hi_u32 s12, s21, s12
	s_mul_hi_u32 s23, s21, s14
	s_add_u32 s12, s12, s24
	s_addc_u32 s23, 0, s23
	s_add_u32 s12, s12, s20
	s_mul_hi_u32 s15, s19, s14
	s_addc_u32 s12, s23, s18
	s_addc_u32 s15, s15, 0
	s_mul_i32 s14, s19, s14
	s_add_u32 s12, s12, s14
	s_addc_u32 s18, 0, s15
	s_add_u32 s20, s21, s12
	s_cselect_b64 s[14:15], -1, 0
	s_cmp_lg_u64 s[14:15], 0
	s_addc_u32 s18, s19, s18
	s_ashr_i32 s14, s13, 31
	s_add_u32 s12, s5, s14
	s_mov_b32 s15, s14
	s_addc_u32 s13, s13, s14
	s_xor_b64 s[12:13], s[12:13], s[14:15]
	s_mul_i32 s21, s12, s18
	s_mul_hi_u32 s23, s12, s20
	s_mul_hi_u32 s19, s12, s18
	s_add_u32 s21, s23, s21
	s_addc_u32 s19, 0, s19
	s_mul_hi_u32 s24, s13, s20
	s_mul_i32 s20, s13, s20
	s_add_u32 s20, s21, s20
	s_mul_hi_u32 s23, s13, s18
	s_addc_u32 s19, s19, s24
	s_addc_u32 s20, s23, 0
	s_mul_i32 s18, s13, s18
	s_add_u32 s23, s19, s18
	s_addc_u32 s24, 0, s20
	s_mul_i32 s18, s6, s24
	s_mul_hi_u32 s19, s6, s23
	s_add_i32 s18, s19, s18
	s_mul_i32 s19, s7, s23
	s_add_i32 s25, s18, s19
	s_sub_i32 s20, s13, s25
	s_mul_i32 s18, s6, s23
	s_sub_u32 s12, s12, s18
	s_cselect_b64 s[18:19], -1, 0
	s_cmp_lg_u64 s[18:19], 0
	s_subb_u32 s26, s20, s7
	s_sub_u32 s27, s12, s6
	s_cselect_b64 s[20:21], -1, 0
	s_cmp_lg_u64 s[20:21], 0
	s_subb_u32 s20, s26, 0
	s_cmp_ge_u32 s20, s7
	s_cselect_b32 s21, -1, 0
	s_cmp_ge_u32 s27, s6
	s_cselect_b32 s26, -1, 0
	s_cmp_eq_u32 s20, s7
	s_cselect_b32 s20, s26, s21
	s_add_u32 s21, s23, 1
	s_addc_u32 s26, s24, 0
	s_add_u32 s27, s23, 2
	s_addc_u32 s28, s24, 0
	s_cmp_lg_u32 s20, 0
	s_cselect_b32 s20, s27, s21
	s_cselect_b32 s21, s28, s26
	s_cmp_lg_u64 s[18:19], 0
	s_subb_u32 s13, s13, s25
	s_cmp_ge_u32 s13, s7
	s_cselect_b32 s18, -1, 0
	s_cmp_ge_u32 s12, s6
	s_cselect_b32 s6, -1, 0
	s_cmp_eq_u32 s13, s7
	s_cselect_b32 s6, s6, s18
	s_cmp_lg_u32 s6, 0
	s_cselect_b32 s7, s21, s24
	s_cselect_b32 s6, s20, s23
	s_xor_b64 s[12:13], s[14:15], 0
	s_xor_b64 s[6:7], s[6:7], s[12:13]
	s_sub_u32 s6, s6, s12
	s_load_dwordx4 s[12:15], s[0:1], 0x44
	s_cbranch_execnz .LBB16_3
.LBB16_2:
	v_cvt_f32_u32_e32 v1, s22
	s_sub_i32 s6, 0, s22
	v_rcp_iflag_f32_e32 v1, v1
	s_nop 0
	v_mul_f32_e32 v1, 0x4f7ffffe, v1
	v_cvt_u32_f32_e32 v1, v1
	s_nop 0
	v_readfirstlane_b32 s7, v1
	s_mul_i32 s6, s6, s7
	s_mul_hi_u32 s6, s7, s6
	s_add_i32 s7, s7, s6
	s_mul_hi_u32 s6, s5, s7
	s_waitcnt lgkmcnt(0)
	s_mul_i32 s15, s6, s22
	s_sub_i32 s5, s5, s15
	s_add_i32 s7, s6, 1
	s_sub_i32 s15, s5, s22
	s_cmp_ge_u32 s5, s22
	s_cselect_b32 s6, s7, s6
	s_cselect_b32 s5, s15, s5
	s_add_i32 s7, s6, 1
	s_cmp_ge_u32 s5, s22
	s_cselect_b32 s6, s7, s6
.LBB16_3:
	s_add_i32 s5, s2, 1
	s_mul_hi_i32 s21, s11, s5
	s_mov_b32 s20, 0
	s_cmp_lg_u64 s[20:21], 0
	s_mul_i32 s5, s11, s5
	s_cbranch_scc0 .LBB16_21
; %bb.4:
	s_add_u32 s16, s22, 0
	s_addc_u32 s17, 0, 0
	s_xor_b64 s[18:19], s[16:17], 0
	v_cvt_f32_u32_e32 v1, s18
	v_cvt_f32_u32_e32 v2, s19
	s_sub_u32 s7, 0, s18
	s_waitcnt lgkmcnt(0)
	s_subb_u32 s15, 0, s19
	v_fmamk_f32 v1, v2, 0x4f800000, v1
	v_rcp_f32_e32 v1, v1
	s_nop 0
	v_mul_f32_e32 v1, 0x5f7ffffc, v1
	v_mul_f32_e32 v2, 0x2f800000, v1
	v_trunc_f32_e32 v2, v2
	v_fmamk_f32 v1, v2, 0xcf800000, v1
	v_cvt_u32_f32_e32 v2, v2
	v_cvt_u32_f32_e32 v1, v1
	v_readfirstlane_b32 s20, v2
	v_readfirstlane_b32 s23, v1
	s_mul_i32 s24, s7, s20
	s_mul_hi_u32 s26, s7, s23
	s_mul_i32 s25, s15, s23
	s_add_i32 s24, s26, s24
	s_add_i32 s24, s24, s25
	s_mul_i32 s27, s7, s23
	s_mul_i32 s26, s23, s24
	s_mul_hi_u32 s28, s23, s27
	s_mul_hi_u32 s25, s23, s24
	s_add_u32 s26, s28, s26
	s_addc_u32 s25, 0, s25
	s_mul_hi_u32 s29, s20, s27
	s_mul_i32 s27, s20, s27
	s_add_u32 s26, s26, s27
	s_mul_hi_u32 s28, s20, s24
	s_addc_u32 s25, s25, s29
	s_addc_u32 s26, s28, 0
	s_mul_i32 s24, s20, s24
	s_add_u32 s24, s25, s24
	s_addc_u32 s26, 0, s26
	s_add_u32 s23, s23, s24
	s_cselect_b64 s[24:25], -1, 0
	s_cmp_lg_u64 s[24:25], 0
	s_addc_u32 s20, s20, s26
	s_mul_i32 s24, s7, s20
	s_mul_hi_u32 s25, s7, s23
	s_add_i32 s24, s25, s24
	s_mul_i32 s15, s15, s23
	s_add_i32 s24, s24, s15
	s_mul_i32 s7, s7, s23
	s_mul_hi_u32 s25, s20, s7
	s_mul_i32 s26, s20, s7
	s_mul_i32 s28, s23, s24
	s_mul_hi_u32 s7, s23, s7
	s_mul_hi_u32 s27, s23, s24
	s_add_u32 s7, s7, s28
	s_addc_u32 s27, 0, s27
	s_add_u32 s7, s7, s26
	s_mul_hi_u32 s15, s20, s24
	s_addc_u32 s7, s27, s25
	s_addc_u32 s15, s15, 0
	s_mul_i32 s24, s20, s24
	s_add_u32 s7, s7, s24
	s_addc_u32 s15, 0, s15
	s_add_u32 s7, s23, s7
	s_cselect_b64 s[24:25], -1, 0
	s_cmp_lg_u64 s[24:25], 0
	s_addc_u32 s15, s20, s15
	s_ashr_i32 s24, s21, 31
	s_add_u32 s20, s5, s24
	s_mov_b32 s25, s24
	s_addc_u32 s21, s21, s24
	s_xor_b64 s[20:21], s[20:21], s[24:25]
	s_mul_i32 s26, s20, s15
	s_mul_hi_u32 s27, s20, s7
	s_mul_hi_u32 s23, s20, s15
	s_add_u32 s26, s27, s26
	s_addc_u32 s23, 0, s23
	s_mul_hi_u32 s28, s21, s7
	s_mul_i32 s7, s21, s7
	s_add_u32 s7, s26, s7
	s_mul_hi_u32 s27, s21, s15
	s_addc_u32 s7, s23, s28
	s_addc_u32 s23, s27, 0
	s_mul_i32 s15, s21, s15
	s_add_u32 s7, s7, s15
	s_addc_u32 s15, 0, s23
	s_mul_i32 s23, s18, s15
	s_mul_hi_u32 s26, s18, s7
	s_add_i32 s23, s26, s23
	s_mul_i32 s26, s19, s7
	s_add_i32 s23, s23, s26
	s_sub_i32 s28, s21, s23
	s_mul_i32 s26, s18, s7
	s_sub_u32 s20, s20, s26
	s_cselect_b64 s[26:27], -1, 0
	s_cmp_lg_u64 s[26:27], 0
	s_subb_u32 s30, s28, s19
	s_sub_u32 s31, s20, s18
	s_cselect_b64 s[28:29], -1, 0
	s_cmp_lg_u64 s[28:29], 0
	s_subb_u32 s28, s30, 0
	s_cmp_ge_u32 s28, s19
	s_cselect_b32 s29, -1, 0
	s_cmp_ge_u32 s31, s18
	s_cselect_b32 s30, -1, 0
	s_cmp_eq_u32 s28, s19
	s_cselect_b32 s28, s30, s29
	s_add_u32 s29, s7, 1
	s_addc_u32 s30, s15, 0
	s_add_u32 s31, s7, 2
	s_addc_u32 s33, s15, 0
	s_cmp_lg_u32 s28, 0
	s_cselect_b32 s28, s31, s29
	s_cselect_b32 s29, s33, s30
	s_cmp_lg_u64 s[26:27], 0
	s_subb_u32 s21, s21, s23
	s_cmp_ge_u32 s21, s19
	s_cselect_b32 s23, -1, 0
	s_cmp_ge_u32 s20, s18
	s_cselect_b32 s18, -1, 0
	s_cmp_eq_u32 s21, s19
	s_cselect_b32 s18, s18, s23
	s_cmp_lg_u32 s18, 0
	s_cselect_b32 s19, s29, s15
	s_cselect_b32 s18, s28, s7
	s_xor_b64 s[20:21], s[24:25], 0
	s_xor_b64 s[18:19], s[18:19], s[20:21]
	s_sub_u32 s18, s18, s20
	s_cbranch_execnz .LBB16_6
.LBB16_5:
	v_cvt_f32_u32_e32 v1, s22
	s_sub_i32 s7, 0, s22
	v_rcp_iflag_f32_e32 v1, v1
	s_nop 0
	v_mul_f32_e32 v1, 0x4f7ffffe, v1
	v_cvt_u32_f32_e32 v1, v1
	s_waitcnt lgkmcnt(0)
	v_readfirstlane_b32 s15, v1
	s_mul_i32 s7, s7, s15
	s_mul_hi_u32 s7, s15, s7
	s_add_i32 s15, s15, s7
	s_mul_hi_u32 s7, s5, s15
	s_mul_i32 s16, s7, s22
	s_sub_i32 s5, s5, s16
	s_add_i32 s15, s7, 1
	s_sub_i32 s16, s5, s22
	s_cmp_ge_u32 s5, s22
	s_cselect_b32 s7, s15, s7
	s_cselect_b32 s5, s16, s5
	s_add_i32 s15, s7, 1
	s_cmp_ge_u32 s5, s22
	s_cselect_b32 s18, s15, s7
.LBB16_6:
	s_cmp_eq_u32 s6, s18
	s_waitcnt lgkmcnt(0)
	s_mul_hi_u32 s5, s6, s12
	s_cselect_b64 s[16:17], -1, 0
	s_add_i32 s5, s5, s6
	s_lshr_b32 s7, s5, s13
	s_mul_i32 s5, s7, s14
	s_cmp_eq_u32 s5, s6
	s_mul_hi_u32 s5, s18, s12
	s_cselect_b64 s[20:21], -1, 0
	s_add_i32 s5, s5, s18
	s_lshr_b32 s5, s5, s13
	s_cmp_eq_u32 s7, s5
	s_mul_i32 s5, s5, s14
	s_cselect_b64 s[24:25], -1, 0
	s_cmp_lg_u32 s5, s18
	s_cselect_b64 s[18:19], -1, 0
	s_and_b64 s[18:19], s[24:25], s[18:19]
	s_or_b64 s[16:17], s[16:17], s[20:21]
	s_or_b64 s[16:17], s[16:17], s[18:19]
	s_and_b64 vcc, exec, s[16:17]
	s_cbranch_vccnz .LBB16_23
; %bb.7:
	s_load_dwordx8 s[24:31], s[0:1], 0x20
	s_load_dword s5, s[0:1], 0x40
	s_waitcnt lgkmcnt(0)
	s_mul_hi_u32 s15, s6, s24
	s_add_i32 s15, s15, s6
	s_lshr_b32 s20, s15, s25
	s_mul_i32 s15, s20, s26
	s_sub_i32 s15, s6, s15
	s_mul_hi_u32 s16, s15, s27
	s_add_i32 s16, s15, s16
	s_lshr_b32 s21, s16, s28
	s_mul_i32 s16, s21, s29
	s_sub_i32 s15, s15, s16
	;; [unrolled: 5-line block ×3, first 2 shown]
	s_mul_hi_u32 s15, s5, s12
	s_add_i32 s5, s5, s15
	s_lshr_b32 s23, s5, s13
	s_add_i32 s23, s23, s3
	s_cmp_lt_i32 s23, s8
	s_cselect_b64 s[16:17], -1, 0
	s_add_i32 s24, s24, s4
	s_cmp_lt_i32 s24, s10
	s_cselect_b64 s[18:19], -1, 0
	s_and_b64 s[16:17], s[16:17], s[18:19]
	s_andn2_b64 vcc, exec, s[16:17]
	s_cbranch_vccnz .LBB16_23
; %bb.8:
	s_load_dwordx4 s[16:19], s[0:1], 0x0
	s_mov_b32 s0, 0
	s_add_i32 s15, s3, s4
	s_lshl_b32 s4, s22, 2
	s_mov_b32 s5, s0
	s_lshl_b64 s[4:5], s[4:5], 2
	s_waitcnt lgkmcnt(0)
	s_add_u32 s4, s18, s4
	s_mul_i32 s20, s20, s8
	s_addc_u32 s5, s19, s5
	s_mul_i32 s21, s21, s10
	s_add_i32 s1, s23, s20
	s_mul_i32 s1, s1, s9
	s_add_i32 s3, s24, s21
	s_add_i32 s3, s3, s1
	v_lshl_or_b32 v4, s3, 7, v0
	v_mov_b32_e32 v2, s16
	v_mov_b32_e32 v3, s17
	v_ashrrev_i32_e32 v5, 31, v4
	v_lshl_add_u64 v[2:3], v[4:5], 2, v[2:3]
	global_load_dword v5, v[2:3], off
	v_cvt_f32_u32_e32 v1, s22
	s_add_i32 s8, s15, s2
	s_ashr_i32 s9, s8, 31
	s_lshl_b64 s[8:9], s[8:9], 3
	v_rcp_iflag_f32_e32 v1, v1
	s_add_u32 s8, s18, s8
	s_addc_u32 s9, s19, s9
	s_load_dwordx2 s[8:9], s[8:9], 0x0
	v_mul_f32_e32 v1, 0x4f7ffffe, v1
	v_cvt_u32_f32_e32 v1, v1
	s_add_i32 s24, s2, -1
	s_mov_b32 s10, 0x3fb8aa3b
	s_waitcnt lgkmcnt(0)
	v_mov_b32_e32 v4, s9
	v_mov_b32_e32 v9, s8
	s_mov_b32 s20, 0xc2ce8ed0
	s_mov_b32 s21, 0x42b17218
	;; [unrolled: 1-line block ×3, first 2 shown]
	v_mov_b32_e32 v8, 0x7f800000
	s_mul_hi_i32 s1, s24, s11
	s_cmp_lg_u64 s[0:1], 0
	s_mul_i32 s16, s24, s11
	s_cbranch_scc0 .LBB16_19
.LBB16_9:
	s_add_u32 s2, s22, 0
	s_addc_u32 s3, 0, 0
	s_xor_b64 s[2:3], s[2:3], 0
	v_cvt_f32_u32_e32 v6, s2
	v_cvt_f32_u32_e32 v7, s3
	s_sub_u32 s17, 0, s2
	s_subb_u32 s25, 0, s3
	v_fmac_f32_e32 v6, 0x4f800000, v7
	v_rcp_f32_e32 v6, v6
	s_nop 0
	v_mul_f32_e32 v6, 0x5f7ffffc, v6
	v_mul_f32_e32 v7, 0x2f800000, v6
	v_trunc_f32_e32 v7, v7
	v_fmac_f32_e32 v6, 0xcf800000, v7
	v_cvt_u32_f32_e32 v7, v7
	v_cvt_u32_f32_e32 v6, v6
	v_readfirstlane_b32 s26, v7
	v_readfirstlane_b32 s8, v6
	s_mul_i32 s9, s17, s26
	s_mul_hi_u32 s28, s17, s8
	s_mul_i32 s27, s25, s8
	s_add_i32 s9, s28, s9
	s_mul_i32 s29, s17, s8
	s_add_i32 s9, s9, s27
	s_mul_i32 s28, s8, s9
	s_mul_hi_u32 s30, s8, s29
	s_mul_hi_u32 s27, s8, s9
	s_add_u32 s28, s30, s28
	s_addc_u32 s27, 0, s27
	s_mul_hi_u32 s31, s26, s29
	s_mul_i32 s29, s26, s29
	s_add_u32 s28, s28, s29
	s_mul_hi_u32 s30, s26, s9
	s_addc_u32 s27, s27, s31
	s_addc_u32 s28, s30, 0
	s_mul_i32 s9, s26, s9
	s_add_u32 s9, s27, s9
	s_addc_u32 s27, 0, s28
	s_add_u32 s28, s8, s9
	s_cselect_b64 s[8:9], -1, 0
	s_cmp_lg_u64 s[8:9], 0
	s_addc_u32 s26, s26, s27
	s_mul_i32 s8, s17, s26
	s_mul_hi_u32 s9, s17, s28
	s_add_i32 s8, s9, s8
	s_mul_i32 s25, s25, s28
	s_add_i32 s8, s8, s25
	s_mul_i32 s17, s17, s28
	s_mul_hi_u32 s25, s26, s17
	s_mul_i32 s27, s26, s17
	s_mul_i32 s30, s28, s8
	s_mul_hi_u32 s17, s28, s17
	s_mul_hi_u32 s29, s28, s8
	s_add_u32 s17, s17, s30
	s_addc_u32 s29, 0, s29
	s_add_u32 s17, s17, s27
	s_mul_hi_u32 s9, s26, s8
	s_addc_u32 s17, s29, s25
	s_addc_u32 s9, s9, 0
	s_mul_i32 s8, s26, s8
	s_add_u32 s8, s17, s8
	s_addc_u32 s17, 0, s9
	s_add_u32 s25, s28, s8
	s_cselect_b64 s[8:9], -1, 0
	s_cmp_lg_u64 s[8:9], 0
	s_addc_u32 s17, s26, s17
	s_ashr_i32 s8, s1, 31
	s_add_u32 s26, s16, s8
	s_mov_b32 s9, s8
	s_addc_u32 s27, s1, s8
	s_xor_b64 s[26:27], s[26:27], s[8:9]
	s_mul_i32 s28, s26, s17
	s_mul_hi_u32 s29, s26, s25
	s_mul_hi_u32 s1, s26, s17
	s_add_u32 s28, s29, s28
	s_addc_u32 s1, 0, s1
	s_mul_hi_u32 s30, s27, s25
	s_mul_i32 s25, s27, s25
	s_add_u32 s25, s28, s25
	s_mul_hi_u32 s29, s27, s17
	s_addc_u32 s1, s1, s30
	s_addc_u32 s25, s29, 0
	s_mul_i32 s17, s27, s17
	s_add_u32 s1, s1, s17
	s_addc_u32 s17, 0, s25
	s_mul_i32 s25, s2, s17
	s_mul_hi_u32 s28, s2, s1
	s_add_i32 s25, s28, s25
	s_mul_i32 s28, s3, s1
	s_add_i32 s25, s25, s28
	s_sub_i32 s30, s27, s25
	s_mul_i32 s28, s2, s1
	s_sub_u32 s26, s26, s28
	s_cselect_b64 s[28:29], -1, 0
	s_cmp_lg_u64 s[28:29], 0
	s_subb_u32 s33, s30, s3
	s_sub_u32 s34, s26, s2
	s_cselect_b64 s[30:31], -1, 0
	s_cmp_lg_u64 s[30:31], 0
	s_subb_u32 s30, s33, 0
	s_cmp_ge_u32 s30, s3
	s_cselect_b32 s31, -1, 0
	s_cmp_ge_u32 s34, s2
	s_cselect_b32 s33, -1, 0
	s_cmp_eq_u32 s30, s3
	s_cselect_b32 s30, s33, s31
	s_add_u32 s31, s1, 1
	s_addc_u32 s33, s17, 0
	s_add_u32 s34, s1, 2
	s_addc_u32 s35, s17, 0
	s_cmp_lg_u32 s30, 0
	s_cselect_b32 s30, s34, s31
	s_cselect_b32 s31, s35, s33
	s_cmp_lg_u64 s[28:29], 0
	s_subb_u32 s25, s27, s25
	s_cmp_ge_u32 s25, s3
	s_cselect_b32 s27, -1, 0
	s_cmp_ge_u32 s26, s2
	s_cselect_b32 s2, -1, 0
	s_cmp_eq_u32 s25, s3
	s_cselect_b32 s2, s2, s27
	s_cmp_lg_u32 s2, 0
	s_cselect_b32 s3, s31, s17
	s_cselect_b32 s2, s30, s1
	s_xor_b64 s[8:9], s[8:9], 0
	s_xor_b64 s[2:3], s[2:3], s[8:9]
	s_sub_u32 s8, s2, s8
	s_cbranch_execnz .LBB16_11
.LBB16_10:
	s_sub_i32 s1, 0, s22
	v_readfirstlane_b32 s2, v1
	s_mul_i32 s1, s1, s2
	s_mul_hi_u32 s1, s2, s1
	s_add_i32 s2, s2, s1
	s_mul_hi_u32 s1, s16, s2
	s_mul_i32 s3, s1, s22
	s_sub_i32 s3, s16, s3
	s_add_i32 s2, s1, 1
	s_sub_i32 s8, s3, s22
	s_cmp_ge_u32 s3, s22
	s_cselect_b32 s1, s2, s1
	s_cselect_b32 s3, s8, s3
	s_add_i32 s2, s1, 1
	s_cmp_ge_u32 s3, s22
	s_cselect_b32 s8, s2, s1
.LBB16_11:
	s_cmp_lg_u32 s6, s8
	s_cbranch_scc0 .LBB16_15
; %bb.12:
	s_add_i32 s9, s24, s15
	s_add_i32 s2, s9, s22
	s_mov_b32 s3, s0
	s_lshl_b64 s[2:3], s[2:3], 3
	s_add_u32 s16, s18, s2
	s_mul_hi_u32 s1, s8, s12
	s_addc_u32 s17, s19, s3
	s_add_i32 s1, s1, s8
	s_lshr_b32 s1, s1, s13
	s_mul_i32 s2, s1, s14
	s_cmp_eq_u32 s2, s8
	s_cselect_b64 s[2:3], -1, 0
	s_cmp_lt_u32 s1, s7
	s_cselect_b64 s[26:27], -1, 0
	s_or_b64 s[26:27], s[26:27], s[2:3]
	s_mov_b64 s[2:3], -1
	s_and_b64 vcc, exec, s[26:27]
	s_mov_b32 s1, s24
	s_mov_b32 s25, s6
	s_cbranch_vccnz .LBB16_14
; %bb.13:
	s_add_i32 s1, s24, -1
	s_mov_b64 s[2:3], 0
	s_mov_b32 s25, s8
.LBB16_14:
	v_lshl_or_b32 v6, s9, 7, v0
	v_ashrrev_i32_e32 v7, 31, v6
	v_lshl_add_u64 v[6:7], v[6:7], 2, s[4:5]
	global_load_dword v7, v[6:7], off
	s_load_dwordx2 s[8:9], s[16:17], 0x0
	v_max_f32_e32 v6, v9, v9
	s_waitcnt lgkmcnt(0)
	v_max_f32_e64 v10, s8, s8
	v_max_f32_e32 v10, v6, v10
	v_sub_f32_e32 v11, v9, v10
	v_sub_f32_e32 v13, s8, v10
	v_mul_f32_e32 v6, 0x3fb8aa3b, v11
	v_mul_f32_e32 v12, 0x3fb8aa3b, v13
	v_fma_f32 v14, v11, s10, -v6
	v_rndne_f32_e32 v15, v6
	v_fma_f32 v16, v13, s10, -v12
	v_rndne_f32_e32 v17, v12
	v_fmac_f32_e32 v14, 0x32a5705f, v11
	v_sub_f32_e32 v6, v6, v15
	v_fmac_f32_e32 v16, 0x32a5705f, v13
	v_sub_f32_e32 v12, v12, v17
	v_add_f32_e32 v6, v6, v14
	v_cvt_i32_f32_e32 v15, v15
	v_add_f32_e32 v12, v12, v16
	v_exp_f32_e32 v14, v6
	v_cvt_i32_f32_e32 v17, v17
	v_exp_f32_e32 v12, v12
	v_cmp_ngt_f32_e32 vcc, s20, v11
	v_ldexp_f32 v14, v14, v15
	v_mov_b32_e32 v6, s9
	v_ldexp_f32 v12, v12, v17
	v_cndmask_b32_e32 v14, 0, v14, vcc
	v_cmp_ngt_f32_e32 vcc, s20, v13
	s_nop 1
	v_cndmask_b32_e32 v12, 0, v12, vcc
	v_cmp_nlt_f32_e32 vcc, s21, v11
	s_nop 1
	v_cndmask_b32_e32 v14, v8, v14, vcc
	v_cmp_nlt_f32_e32 vcc, s21, v13
	s_nop 1
	v_cndmask_b32_e32 v15, v8, v12, vcc
	v_cmp_le_f32_e32 vcc, s23, v11
	s_nop 1
	v_cndmask_b32_e32 v12, 0, v14, vcc
	v_cmp_le_f32_e32 vcc, s23, v13
	s_nop 1
	v_cndmask_b32_e32 v14, 0, v15, vcc
	s_waitcnt vmcnt(0)
	v_pk_mul_f32 v[6:7], v[6:7], v[14:15] op_sel_hi:[1,0]
	s_nop 0
	v_pk_fma_f32 v[6:7], v[4:5], v[12:13], v[6:7] op_sel_hi:[1,0,1]
	s_cbranch_execz .LBB16_16
	s_branch .LBB16_17
.LBB16_15:
                                        ; implicit-def: $vgpr6_vgpr7
                                        ; implicit-def: $sgpr2_sgpr3
                                        ; implicit-def: $vgpr10
                                        ; implicit-def: $sgpr1
                                        ; implicit-def: $sgpr25
.LBB16_16:
	s_add_i32 s1, s24, -1
	s_mov_b64 s[2:3], 0
	s_mov_b32 s25, s6
	v_mov_b32_e32 v10, v9
	s_waitcnt vmcnt(0)
	v_mov_b64_e32 v[6:7], v[4:5]
.LBB16_17:
	s_andn2_b64 vcc, exec, s[2:3]
	s_cbranch_vccz .LBB16_22
; %bb.18:
	s_mov_b32 s6, s25
	s_mov_b32 s24, s1
	v_mov_b32_e32 v9, v10
	s_waitcnt vmcnt(0)
	v_mov_b64_e32 v[4:5], v[6:7]
	s_mul_hi_i32 s1, s24, s11
	s_cmp_lg_u64 s[0:1], 0
	s_mul_i32 s16, s24, s11
	s_cbranch_scc1 .LBB16_9
.LBB16_19:
                                        ; implicit-def: $sgpr8_sgpr9
	s_branch .LBB16_10
.LBB16_20:
                                        ; implicit-def: $sgpr6_sgpr7
	s_load_dwordx4 s[12:15], s[0:1], 0x44
	s_branch .LBB16_2
.LBB16_21:
                                        ; implicit-def: $sgpr18_sgpr19
	s_branch .LBB16_5
.LBB16_22:
	v_div_scale_f32 v0, s[0:1], v6, v6, v7
	v_rcp_f32_e32 v1, v0
	v_div_scale_f32 v4, vcc, v7, v6, v7
	s_waitcnt vmcnt(0)
	v_fma_f32 v5, -v0, v1, 1.0
	v_fmac_f32_e32 v1, v5, v1
	v_mul_f32_e32 v5, v4, v1
	v_fma_f32 v8, -v0, v5, v4
	v_fmac_f32_e32 v5, v8, v1
	v_fma_f32 v0, -v0, v5, v4
	v_div_fmas_f32 v0, v0, v1, v5
	v_div_fixup_f32 v0, v0, v6, v7
	global_store_dword v[2:3], v0, off
.LBB16_23:
	s_endpgm
	.section	.rodata,"a",@progbits
	.p2align	6, 0x0
	.amdhsa_kernel _ZL33flash_attn_stream_k_fixup_generalILi128ELi1ELi1EEvPfPK15HIP_vector_typeIfLj2EEiiiiS1_IjLj3EES5_S5_S5_
		.amdhsa_group_segment_fixed_size 0
		.amdhsa_private_segment_fixed_size 0
		.amdhsa_kernarg_size 336
		.amdhsa_user_sgpr_count 2
		.amdhsa_user_sgpr_dispatch_ptr 0
		.amdhsa_user_sgpr_queue_ptr 0
		.amdhsa_user_sgpr_kernarg_segment_ptr 1
		.amdhsa_user_sgpr_dispatch_id 0
		.amdhsa_user_sgpr_kernarg_preload_length 0
		.amdhsa_user_sgpr_kernarg_preload_offset 0
		.amdhsa_user_sgpr_private_segment_size 0
		.amdhsa_uses_dynamic_stack 0
		.amdhsa_enable_private_segment 0
		.amdhsa_system_sgpr_workgroup_id_x 1
		.amdhsa_system_sgpr_workgroup_id_y 1
		.amdhsa_system_sgpr_workgroup_id_z 1
		.amdhsa_system_sgpr_workgroup_info 0
		.amdhsa_system_vgpr_workitem_id 0
		.amdhsa_next_free_vgpr 18
		.amdhsa_next_free_sgpr 36
		.amdhsa_accum_offset 20
		.amdhsa_reserve_vcc 1
		.amdhsa_float_round_mode_32 0
		.amdhsa_float_round_mode_16_64 0
		.amdhsa_float_denorm_mode_32 3
		.amdhsa_float_denorm_mode_16_64 3
		.amdhsa_dx10_clamp 1
		.amdhsa_ieee_mode 1
		.amdhsa_fp16_overflow 0
		.amdhsa_tg_split 0
		.amdhsa_exception_fp_ieee_invalid_op 0
		.amdhsa_exception_fp_denorm_src 0
		.amdhsa_exception_fp_ieee_div_zero 0
		.amdhsa_exception_fp_ieee_overflow 0
		.amdhsa_exception_fp_ieee_underflow 0
		.amdhsa_exception_fp_ieee_inexact 0
		.amdhsa_exception_int_div_zero 0
	.end_amdhsa_kernel
	.section	.text._ZL33flash_attn_stream_k_fixup_generalILi128ELi1ELi1EEvPfPK15HIP_vector_typeIfLj2EEiiiiS1_IjLj3EES5_S5_S5_,"axG",@progbits,_ZL33flash_attn_stream_k_fixup_generalILi128ELi1ELi1EEvPfPK15HIP_vector_typeIfLj2EEiiiiS1_IjLj3EES5_S5_S5_,comdat
.Lfunc_end16:
	.size	_ZL33flash_attn_stream_k_fixup_generalILi128ELi1ELi1EEvPfPK15HIP_vector_typeIfLj2EEiiiiS1_IjLj3EES5_S5_S5_, .Lfunc_end16-_ZL33flash_attn_stream_k_fixup_generalILi128ELi1ELi1EEvPfPK15HIP_vector_typeIfLj2EEiiiiS1_IjLj3EES5_S5_S5_
                                        ; -- End function
	.set _ZL33flash_attn_stream_k_fixup_generalILi128ELi1ELi1EEvPfPK15HIP_vector_typeIfLj2EEiiiiS1_IjLj3EES5_S5_S5_.num_vgpr, 18
	.set _ZL33flash_attn_stream_k_fixup_generalILi128ELi1ELi1EEvPfPK15HIP_vector_typeIfLj2EEiiiiS1_IjLj3EES5_S5_S5_.num_agpr, 0
	.set _ZL33flash_attn_stream_k_fixup_generalILi128ELi1ELi1EEvPfPK15HIP_vector_typeIfLj2EEiiiiS1_IjLj3EES5_S5_S5_.numbered_sgpr, 36
	.set _ZL33flash_attn_stream_k_fixup_generalILi128ELi1ELi1EEvPfPK15HIP_vector_typeIfLj2EEiiiiS1_IjLj3EES5_S5_S5_.num_named_barrier, 0
	.set _ZL33flash_attn_stream_k_fixup_generalILi128ELi1ELi1EEvPfPK15HIP_vector_typeIfLj2EEiiiiS1_IjLj3EES5_S5_S5_.private_seg_size, 0
	.set _ZL33flash_attn_stream_k_fixup_generalILi128ELi1ELi1EEvPfPK15HIP_vector_typeIfLj2EEiiiiS1_IjLj3EES5_S5_S5_.uses_vcc, 1
	.set _ZL33flash_attn_stream_k_fixup_generalILi128ELi1ELi1EEvPfPK15HIP_vector_typeIfLj2EEiiiiS1_IjLj3EES5_S5_S5_.uses_flat_scratch, 0
	.set _ZL33flash_attn_stream_k_fixup_generalILi128ELi1ELi1EEvPfPK15HIP_vector_typeIfLj2EEiiiiS1_IjLj3EES5_S5_S5_.has_dyn_sized_stack, 0
	.set _ZL33flash_attn_stream_k_fixup_generalILi128ELi1ELi1EEvPfPK15HIP_vector_typeIfLj2EEiiiiS1_IjLj3EES5_S5_S5_.has_recursion, 0
	.set _ZL33flash_attn_stream_k_fixup_generalILi128ELi1ELi1EEvPfPK15HIP_vector_typeIfLj2EEiiiiS1_IjLj3EES5_S5_S5_.has_indirect_call, 0
	.section	.AMDGPU.csdata,"",@progbits
; Kernel info:
; codeLenInByte = 2896
; TotalNumSgprs: 42
; NumVgprs: 18
; NumAgprs: 0
; TotalNumVgprs: 18
; ScratchSize: 0
; MemoryBound: 0
; FloatMode: 240
; IeeeMode: 1
; LDSByteSize: 0 bytes/workgroup (compile time only)
; SGPRBlocks: 5
; VGPRBlocks: 2
; NumSGPRsForWavesPerEU: 42
; NumVGPRsForWavesPerEU: 18
; AccumOffset: 20
; Occupancy: 8
; WaveLimiterHint : 0
; COMPUTE_PGM_RSRC2:SCRATCH_EN: 0
; COMPUTE_PGM_RSRC2:USER_SGPR: 2
; COMPUTE_PGM_RSRC2:TRAP_HANDLER: 0
; COMPUTE_PGM_RSRC2:TGID_X_EN: 1
; COMPUTE_PGM_RSRC2:TGID_Y_EN: 1
; COMPUTE_PGM_RSRC2:TGID_Z_EN: 1
; COMPUTE_PGM_RSRC2:TIDIG_COMP_CNT: 0
; COMPUTE_PGM_RSRC3_GFX90A:ACCUM_OFFSET: 4
; COMPUTE_PGM_RSRC3_GFX90A:TG_SPLIT: 0
	.section	.text._ZL26flash_attn_combine_resultsILi128EEvPKfPK15HIP_vector_typeIfLj2EEPfi,"axG",@progbits,_ZL26flash_attn_combine_resultsILi128EEvPKfPK15HIP_vector_typeIfLj2EEPfi,comdat
	.globl	_ZL26flash_attn_combine_resultsILi128EEvPKfPK15HIP_vector_typeIfLj2EEPfi ; -- Begin function _ZL26flash_attn_combine_resultsILi128EEvPKfPK15HIP_vector_typeIfLj2EEPfi
	.p2align	8
	.type	_ZL26flash_attn_combine_resultsILi128EEvPKfPK15HIP_vector_typeIfLj2EEPfi,@function
_ZL26flash_attn_combine_resultsILi128EEvPKfPK15HIP_vector_typeIfLj2EEPfi: ; @_ZL26flash_attn_combine_resultsILi128EEvPKfPK15HIP_vector_typeIfLj2EEPfi
; %bb.0:
	s_load_dwordx2 s[6:7], s[0:1], 0x20
	s_load_dword s19, s[0:1], 0x18
	s_load_dwordx4 s[8:11], s[0:1], 0x0
	s_load_dwordx2 s[14:15], s[0:1], 0x10
	s_waitcnt lgkmcnt(0)
	s_mul_i32 s0, s6, s4
	s_add_i32 s0, s0, s2
	s_mul_i32 s18, s0, s7
	s_add_i32 s18, s18, s3
	s_lshl_b32 s20, s19, 1
	s_mul_i32 s2, s18, s19
	v_cmp_gt_i32_e32 vcc, s20, v0
	s_and_saveexec_b64 s[0:1], vcc
	s_cbranch_execz .LBB17_13
; %bb.1:
	v_xad_u32 v1, v0, -1, s20
	s_movk_i32 s4, 0x7f
	s_ashr_i32 s3, s2, 31
	v_cmp_lt_u32_e32 vcc, s4, v1
	s_mov_b64 s[6:7], -1
	v_mov_b32_e32 v2, v0
	s_and_saveexec_b64 s[4:5], vcc
	s_cbranch_execz .LBB17_10
; %bb.2:
	v_lshrrev_b32_e32 v6, 7, v1
	s_lshl_b64 s[6:7], s[2:3], 3
	v_add_u32_e32 v2, -1, v6
	s_add_u32 s6, s10, s6
	v_or_b32_e32 v1, 0x80, v0
	v_lshrrev_b32_e32 v3, 1, v2
	s_addc_u32 s7, s11, s7
	s_mov_b32 s21, 0
	v_add_u32_e32 v7, 1, v3
	v_cmp_lt_u32_e32 vcc, 13, v2
	v_mov_b32_e32 v4, 0
	v_mov_b64_e32 v[2:3], v[0:1]
	s_and_saveexec_b64 s[12:13], vcc
	s_cbranch_execz .LBB17_6
; %bb.3:
	v_and_b32_e32 v8, -8, v7
	v_lshl_add_u32 v9, v0, 2, 0
	s_mov_b64 s[16:17], 0
	v_mov_b32_e32 v5, 0
	v_mov_b64_e32 v[2:3], v[0:1]
.LBB17_4:                               ; =>This Inner Loop Header: Depth=1
	v_mov_b32_e32 v4, v2
	v_lshl_add_u64 v[24:25], v[4:5], 2, s[6:7]
	v_mov_b32_e32 v4, v3
	v_add_u32_e32 v10, 0x100, v3
	v_mov_b32_e32 v11, v5
	v_lshl_add_u64 v[26:27], v[4:5], 2, s[6:7]
	v_add_u32_e32 v4, 0x100, v2
	v_lshl_add_u64 v[10:11], v[10:11], 2, s[6:7]
	global_load_dword v1, v[24:25], off
	v_lshl_add_u64 v[24:25], v[4:5], 2, s[6:7]
	v_add_u32_e32 v4, 0x200, v2
	global_load_dword v28, v[26:27], off
	global_load_dword v29, v[24:25], off
	;; [unrolled: 1-line block ×3, first 2 shown]
	v_lshl_add_u64 v[10:11], v[4:5], 2, s[6:7]
	v_add_u32_e32 v4, 0x300, v2
	v_add_u32_e32 v12, 0x200, v3
	v_mov_b32_e32 v13, v5
	v_add_u32_e32 v14, 0x300, v3
	v_mov_b32_e32 v15, v5
	v_lshl_add_u64 v[24:25], v[4:5], 2, s[6:7]
	v_add_u32_e32 v4, 0x400, v2
	v_lshl_add_u64 v[12:13], v[12:13], 2, s[6:7]
	v_lshl_add_u64 v[14:15], v[14:15], 2, s[6:7]
	global_load_dword v26, v[10:11], off
	global_load_dword v27, v[12:13], off
	;; [unrolled: 1-line block ×4, first 2 shown]
	v_lshl_add_u64 v[10:11], v[4:5], 2, s[6:7]
	v_add_u32_e32 v4, 0x500, v2
	v_add_u32_e32 v16, 0x400, v3
	v_mov_b32_e32 v17, v5
	v_add_u32_e32 v18, 0x500, v3
	v_mov_b32_e32 v19, v5
	v_lshl_add_u64 v[12:13], v[4:5], 2, s[6:7]
	v_add_u32_e32 v4, 0x600, v2
	v_add_u32_e32 v20, 0x600, v3
	v_mov_b32_e32 v21, v5
	v_add_u32_e32 v22, 0x700, v3
	v_mov_b32_e32 v23, v5
	v_lshl_add_u64 v[16:17], v[16:17], 2, s[6:7]
	v_lshl_add_u64 v[18:19], v[18:19], 2, s[6:7]
	global_load_dword v14, v[10:11], off
	global_load_dword v15, v[16:17], off
	;; [unrolled: 1-line block ×4, first 2 shown]
	v_lshl_add_u64 v[10:11], v[4:5], 2, s[6:7]
	v_add_u32_e32 v4, 0x700, v2
	v_lshl_add_u64 v[20:21], v[20:21], 2, s[6:7]
	v_lshl_add_u64 v[22:23], v[22:23], 2, s[6:7]
	;; [unrolled: 1-line block ×3, first 2 shown]
	global_load_dword v16, v[10:11], off
	global_load_dword v17, v[20:21], off
	;; [unrolled: 1-line block ×4, first 2 shown]
	v_add_u32_e32 v8, -8, v8
	s_add_i32 s21, s21, 16
	v_cmp_eq_u32_e32 vcc, 0, v8
	v_add_u32_e32 v3, 0x800, v3
	v_mov_b32_e32 v4, s21
	s_or_b64 s[16:17], vcc, s[16:17]
	v_add_u32_e32 v2, 0x800, v2
	s_waitcnt vmcnt(14)
	ds_write2st64_b32 v9, v1, v28 offset1:2
	s_waitcnt vmcnt(12)
	ds_write2st64_b32 v9, v29, v30 offset0:4 offset1:6
	s_waitcnt vmcnt(10)
	ds_write2st64_b32 v9, v26, v27 offset0:8 offset1:10
	;; [unrolled: 2-line block ×7, first 2 shown]
	v_add_u32_e32 v9, 0x2000, v9
	s_andn2_b64 exec, exec, s[16:17]
	s_cbranch_execnz .LBB17_4
; %bb.5:
	s_or_b64 exec, exec, s[16:17]
.LBB17_6:
	s_or_b64 exec, exec, s[12:13]
	v_and_b32_e32 v1, 7, v7
	v_cmp_ne_u32_e32 vcc, 0, v1
	s_and_saveexec_b64 s[12:13], vcc
	s_cbranch_execz .LBB17_9
; %bb.7:
	v_lshlrev_b32_e32 v5, 2, v0
	v_lshl_or_b32 v4, v4, 9, v5
	v_add_u32_e32 v7, 0, v4
	s_mov_b64 s[16:17], 0
	v_mov_b32_e32 v5, 0
.LBB17_8:                               ; =>This Inner Loop Header: Depth=1
	v_mov_b32_e32 v4, v2
	v_lshl_add_u64 v[8:9], v[4:5], 2, s[6:7]
	v_mov_b32_e32 v4, v3
	v_lshl_add_u64 v[10:11], v[4:5], 2, s[6:7]
	global_load_dword v4, v[8:9], off
	global_load_dword v12, v[10:11], off
	v_add_u32_e32 v1, -1, v1
	v_cmp_eq_u32_e32 vcc, 0, v1
	v_add_u32_e32 v2, 0x100, v2
	v_add_u32_e32 v3, 0x100, v3
	s_or_b64 s[16:17], vcc, s[16:17]
	s_waitcnt vmcnt(0)
	ds_write2st64_b32 v7, v4, v12 offset1:2
	v_add_u32_e32 v7, 0x400, v7
	s_andn2_b64 exec, exec, s[16:17]
	s_cbranch_execnz .LBB17_8
.LBB17_9:
	s_or_b64 exec, exec, s[12:13]
	v_add_u32_e32 v1, 1, v6
	v_and_b32_e32 v3, 0x3fffffe, v1
	v_cmp_ne_u32_e32 vcc, v1, v3
	v_lshl_or_b32 v2, v3, 7, v0
	s_orn2_b64 s[6:7], vcc, exec
.LBB17_10:
	s_or_b64 exec, exec, s[4:5]
	s_and_b64 exec, exec, s[6:7]
	s_cbranch_execz .LBB17_13
; %bb.11:
	s_lshl_b64 s[4:5], s[2:3], 3
	s_add_u32 s4, s10, s4
	v_mov_b32_e32 v3, 0
	s_addc_u32 s5, s11, s5
	v_lshl_add_u64 v[4:5], v[2:3], 2, s[4:5]
	v_lshl_add_u32 v1, v2, 2, 0
	s_mov_b64 s[4:5], 0
	s_mov_b64 s[6:7], 0x200
.LBB17_12:                              ; =>This Inner Loop Header: Depth=1
	global_load_dword v3, v[4:5], off
	v_add_u32_e32 v2, 0x80, v2
	v_cmp_le_i32_e32 vcc, s20, v2
	v_lshl_add_u64 v[4:5], v[4:5], 0, s[6:7]
	s_or_b64 s[4:5], vcc, s[4:5]
	s_waitcnt vmcnt(0)
	ds_write_b32 v1, v3
	v_add_u32_e32 v1, 0x200, v1
	s_andn2_b64 exec, exec, s[4:5]
	s_cbranch_execnz .LBB17_12
.LBB17_13:
	s_or_b64 exec, exec, s[0:1]
	v_mov_b32_e32 v1, 0
	s_waitcnt lgkmcnt(0)
	s_barrier
	ds_read_b32 v1, v1
	s_cmp_lt_i32 s19, 2
	s_cbranch_scc1 .LBB17_21
; %bb.14:
	s_cmp_eq_u32 s19, 2
	s_cbranch_scc1 .LBB17_18
; %bb.15:
	s_add_i32 s3, s19, -1
	s_and_b32 s4, s3, -2
	s_add_i32 s6, 0, 8
	s_mov_b32 s5, 2
	s_waitcnt lgkmcnt(0)
	v_mov_b32_e32 v4, v1
.LBB17_16:                              ; =>This Inner Loop Header: Depth=1
	v_mov_b32_e32 v2, v1
	v_mov_b32_e32 v1, s6
	;; [unrolled: 1-line block ×3, first 2 shown]
	ds_read2_b32 v[4:5], v1 offset1:2
	s_cmp_lg_u32 s4, s5
	s_cselect_b64 s[10:11], -1, 0
	v_max_f32_e32 v1, v3, v3
	v_max_f32_e32 v6, v2, v2
	s_waitcnt lgkmcnt(0)
	v_cmp_u_f32_e32 vcc, v5, v5
	v_max_f32_e32 v7, v5, v5
	v_max_f32_e32 v8, v4, v4
	v_cndmask_b32_e64 v5, 0, 1, vcc
	v_cmp_u_f32_e32 vcc, v4, v4
	v_readfirstlane_b32 s0, v5
	s_lshl_b32 s0, s0, 1
	v_cndmask_b32_e64 v9, 0, 1, vcc
	v_max_f32_e32 v4, v1, v7
	v_readfirstlane_b32 s1, v9
	s_or_b32 s0, s1, s0
	s_and_b32 s7, s0, 3
	s_cmp_lg_u32 s7, 0
	s_cselect_b64 s[0:1], -1, 0
	s_cmp_eq_u32 s7, 0
	s_cselect_b64 s[12:13], -1, 0
	s_and_b64 s[10:11], s[12:13], s[10:11]
	v_max_f32_e32 v1, v6, v8
	s_add_i32 s5, s5, 2
	s_add_i32 s6, s6, 16
	s_and_b64 vcc, exec, s[10:11]
	s_cbranch_vccnz .LBB17_16
; %bb.17:
	s_add_i32 s5, s5, -4
	s_and_b64 s[6:7], s[0:1], exec
	s_cselect_b32 s5, s5, s3
	s_or_b32 s5, s5, 1
	v_cndmask_b32_e64 v1, v1, v2, s[0:1]
	v_cndmask_b32_e64 v2, v4, v3, s[0:1]
	s_cmp_lg_u32 s3, s4
	v_max_f32_e32 v2, v2, v2
	v_max_f32_e32 v1, v1, v1
	s_cselect_b64 s[6:7], -1, 0
	v_max_f32_e32 v1, v1, v2
	s_or_b64 s[0:1], s[6:7], s[0:1]
	s_and_b64 vcc, exec, s[0:1]
	s_cbranch_vccnz .LBB17_19
	s_branch .LBB17_21
.LBB17_18:
	s_mov_b32 s5, 1
	s_cbranch_execz .LBB17_21
.LBB17_19:
	s_lshl_b32 s1, s5, 3
	s_sub_i32 s0, s19, s5
	s_add_i32 s1, s1, 0
.LBB17_20:                              ; =>This Inner Loop Header: Depth=1
	v_mov_b32_e32 v2, s1
	ds_read_b32 v2, v2
	s_waitcnt lgkmcnt(1)
	v_max_f32_e32 v1, v1, v1
	s_add_i32 s0, s0, -1
	s_add_i32 s1, s1, 8
	s_cmp_eq_u32 s0, 0
	s_waitcnt lgkmcnt(0)
	v_max_f32_e32 v2, v2, v2
	v_max_f32_e32 v1, v1, v2
	s_cbranch_scc0 .LBB17_20
.LBB17_21:
	s_cmp_lt_i32 s19, 1
	s_cbranch_scc1 .LBB17_26
; %bb.22:
	s_lshl_b32 s0, s2, 7
	s_ashr_i32 s1, s0, 31
	s_lshl_b64 s[0:1], s[0:1], 2
	s_add_u32 s16, s8, s0
	s_addc_u32 s17, s9, s1
	s_cmp_lt_u32 s19, 8
	s_cbranch_scc1 .LBB17_27
; %bb.23:
	v_mov_b32_e32 v7, 0
	s_and_b32 s20, s19, 0x7ffffff8
	v_or_b32_e32 v4, 0x380, v0
	s_mov_b32 s21, 0
	s_mov_b32 s22, 0x3fb8aa3b
	;; [unrolled: 1-line block ×4, first 2 shown]
	v_mov_b32_e32 v8, 0x7f800000
	s_mov_b32 s25, 0
	v_mov_b32_e32 v2, v7
	v_mov_b32_e32 v3, v7
.LBB17_24:                              ; =>This Inner Loop Header: Depth=1
	v_add_u32_e32 v6, 0xfffffc80, v4
	v_lshl_add_u64 v[26:27], v[6:7], 2, s[16:17]
	v_add_u32_e32 v6, 0xfffffd00, v4
	v_mov_b32_e32 v9, s21
	v_lshl_add_u64 v[30:31], v[6:7], 2, s[16:17]
	v_add_u32_e32 v6, 0xfffffd80, v4
	ds_read2_b64 v[10:13], v9 offset1:1
	ds_read2_b64 v[14:17], v9 offset0:2 offset1:3
	ds_read2_b64 v[18:21], v9 offset0:4 offset1:5
	;; [unrolled: 1-line block ×3, first 2 shown]
	global_load_dword v33, v[26:27], off
	global_load_dword v35, v[30:31], off
	v_lshl_add_u64 v[26:27], v[6:7], 2, s[16:17]
	v_add_u32_e32 v6, 0xfffffe00, v4
	v_lshl_add_u64 v[30:31], v[6:7], 2, s[16:17]
	v_add_u32_e32 v6, 0xfffffe80, v4
	global_load_dword v37, v[26:27], off
	global_load_dword v39, v[30:31], off
	v_lshl_add_u64 v[26:27], v[6:7], 2, s[16:17]
	v_add_u32_e32 v6, 0xffffff00, v4
	s_waitcnt lgkmcnt(3)
	v_mov_b32_e32 v32, v11
	v_sub_f32_e32 v9, v12, v1
	v_mov_b32_e32 v34, v13
	global_load_dword v11, v[26:27], off
	v_lshl_add_u64 v[12:13], v[6:7], 2, s[16:17]
	s_waitcnt lgkmcnt(2)
	v_mov_b32_e32 v36, v15
	v_add_u32_e32 v6, 0xffffff80, v4
	global_load_dword v15, v[12:13], off
	v_mov_b32_e32 v5, v7
	v_lshl_add_u64 v[12:13], v[6:7], 2, s[16:17]
	v_lshl_add_u64 v[28:29], v[4:5], 2, s[16:17]
	v_sub_f32_e32 v5, v10, v1
	v_mov_b32_e32 v38, v17
	s_waitcnt lgkmcnt(1)
	v_mov_b32_e32 v10, v19
	global_load_dword v17, v[12:13], off
	global_load_dword v19, v[28:29], off
	v_sub_f32_e32 v30, v14, v1
	v_sub_f32_e32 v31, v16, v1
	;; [unrolled: 1-line block ×3, first 2 shown]
	v_mov_b32_e32 v14, v21
	s_waitcnt lgkmcnt(0)
	v_sub_f32_e32 v21, v22, v1
	v_mov_b32_e32 v16, v23
	v_sub_f32_e32 v22, v24, v1
	v_mul_f32_e32 v23, 0x3fb8aa3b, v5
	v_mov_b32_e32 v18, v25
	v_mul_f32_e32 v24, 0x3fb8aa3b, v9
	v_mul_f32_e32 v25, 0x3fb8aa3b, v30
	;; [unrolled: 1-line block ×5, first 2 shown]
	v_fma_f32 v43, v5, s22, -v23
	v_rndne_f32_e32 v44, v23
	v_sub_f32_e32 v20, v20, v1
	v_fma_f32 v45, v9, s22, -v24
	v_rndne_f32_e32 v46, v24
	v_fma_f32 v47, v30, s22, -v25
	v_rndne_f32_e32 v48, v25
	;; [unrolled: 2-line block ×5, first 2 shown]
	v_fmac_f32_e32 v43, 0x32a5705f, v5
	v_sub_f32_e32 v12, v23, v44
	v_mul_f32_e32 v26, 0x3fb8aa3b, v31
	v_mul_f32_e32 v41, 0x3fb8aa3b, v20
	v_fmac_f32_e32 v45, 0x32a5705f, v9
	v_sub_f32_e32 v23, v24, v46
	v_fmac_f32_e32 v47, 0x32a5705f, v30
	v_sub_f32_e32 v25, v25, v48
	;; [unrolled: 2-line block ×5, first 2 shown]
	v_add_f32_e32 v12, v12, v43
	v_fma_f32 v49, v31, s22, -v26
	v_rndne_f32_e32 v50, v26
	v_fma_f32 v53, v20, s22, -v41
	v_rndne_f32_e32 v54, v41
	v_cvt_i32_f32_e32 v13, v44
	v_add_f32_e32 v23, v23, v45
	v_add_f32_e32 v25, v25, v47
	;; [unrolled: 1-line block ×5, first 2 shown]
	v_exp_f32_e32 v12, v12
	v_cvt_i32_f32_e32 v24, v46
	v_cvt_i32_f32_e32 v28, v48
	v_fmac_f32_e32 v49, 0x32a5705f, v31
	v_sub_f32_e32 v26, v26, v50
	v_cvt_i32_f32_e32 v29, v50
	v_cvt_i32_f32_e32 v44, v52
	v_fmac_f32_e32 v53, 0x32a5705f, v20
	v_sub_f32_e32 v41, v41, v54
	v_cvt_i32_f32_e32 v48, v56
	v_cvt_i32_f32_e32 v50, v58
	v_exp_f32_e32 v23, v23
	v_exp_f32_e32 v25, v25
	;; [unrolled: 1-line block ×5, first 2 shown]
	v_add_f32_e32 v26, v26, v49
	v_add_f32_e32 v41, v41, v53
	v_cvt_i32_f32_e32 v46, v54
	v_exp_f32_e32 v26, v26
	v_exp_f32_e32 v41, v41
	v_ldexp_f32 v12, v12, v13
	v_cmp_ngt_f32_e64 s[12:13], s23, v5
	v_ldexp_f32 v13, v23, v24
	v_cmp_ngt_f32_e32 vcc, s23, v9
	v_ldexp_f32 v23, v25, v28
	v_ldexp_f32 v25, v27, v44
	;; [unrolled: 1-line block ×3, first 2 shown]
	v_cmp_ngt_f32_e64 s[8:9], s23, v21
	v_ldexp_f32 v6, v6, v50
	v_cmp_ngt_f32_e64 s[10:11], s23, v22
	v_cndmask_b32_e64 v12, 0, v12, s[12:13]
	v_cmp_nlt_f32_e64 s[12:13], s24, v5
	v_cmp_ngt_f32_e64 s[0:1], s23, v30
	v_cndmask_b32_e32 v13, 0, v13, vcc
	v_cmp_nlt_f32_e32 vcc, s24, v9
	v_cndmask_b32_e64 v27, 0, v27, s[8:9]
	v_cmp_nlt_f32_e64 s[8:9], s24, v21
	v_cndmask_b32_e64 v21, 0, v6, s[10:11]
	v_cndmask_b32_e64 v6, v8, v12, s[12:13]
	v_ldexp_f32 v24, v26, v29
	v_cmp_ngt_f32_e64 s[2:3], s23, v31
	v_cmp_ngt_f32_e64 s[4:5], s23, v40
	v_ldexp_f32 v26, v41, v46
	v_cmp_ngt_f32_e64 s[6:7], s23, v20
	v_cndmask_b32_e64 v9, 0, v23, s[0:1]
	v_cmp_nlt_f32_e64 s[0:1], s24, v30
	v_cndmask_b32_e32 v12, v8, v13, vcc
	s_waitcnt vmcnt(7)
	v_pk_fma_f32 v[2:3], v[6:7], v[32:33], v[2:3] op_sel_hi:[0,1,1]
	v_cndmask_b32_e64 v23, 0, v24, s[2:3]
	v_cmp_nlt_f32_e64 s[2:3], s24, v31
	v_cndmask_b32_e64 v24, 0, v25, s[4:5]
	v_cndmask_b32_e64 v25, 0, v26, s[6:7]
	v_cmp_nlt_f32_e64 s[6:7], s24, v20
	v_cndmask_b32_e64 v20, v8, v9, s[0:1]
	s_waitcnt vmcnt(6)
	v_pk_fma_f32 v[2:3], v[12:13], v[34:35], v[2:3] op_sel_hi:[0,1,1]
	v_cmp_nlt_f32_e64 s[4:5], s24, v40
	v_cmp_nlt_f32_e64 s[10:11], s24, v22
	v_cndmask_b32_e64 v22, v8, v23, s[2:3]
	s_waitcnt vmcnt(5)
	v_pk_fma_f32 v[2:3], v[20:21], v[36:37], v[2:3] op_sel_hi:[0,1,1]
	v_cndmask_b32_e64 v24, v8, v24, s[4:5]
	s_waitcnt vmcnt(4)
	v_pk_fma_f32 v[2:3], v[22:23], v[38:39], v[2:3] op_sel_hi:[0,1,1]
	;; [unrolled: 3-line block ×4, first 2 shown]
	s_add_i32 s25, s25, 8
	s_add_i32 s21, s21, 64
	v_cndmask_b32_e64 v30, v8, v21, s[10:11]
	s_waitcnt vmcnt(1)
	v_pk_fma_f32 v[2:3], v[28:29], v[16:17], v[2:3] op_sel_hi:[0,1,1]
	s_cmp_eq_u32 s20, s25
	v_add_u32_e32 v4, 0x400, v4
	s_waitcnt vmcnt(0)
	v_pk_fma_f32 v[2:3], v[30:31], v[18:19], v[2:3] op_sel_hi:[0,1,1]
	s_cbranch_scc0 .LBB17_24
; %bb.25:
	s_and_b32 s0, s19, 7
	s_cmp_eq_u32 s0, 0
	s_cbranch_scc0 .LBB17_28
	s_branch .LBB17_30
.LBB17_26:
	s_waitcnt lgkmcnt(0)
	v_mov_b32_e32 v1, 0x7fc00000
	s_branch .LBB17_31
.LBB17_27:
	v_mov_b32_e32 v2, 0
	s_mov_b32 s20, 0
	v_mov_b32_e32 v3, v2
	s_and_b32 s0, s19, 7
	s_cmp_eq_u32 s0, 0
	s_cbranch_scc1 .LBB17_30
.LBB17_28:
	s_lshl_b32 s1, s20, 3
	v_lshl_or_b32 v4, s20, 7, v0
	s_add_i32 s1, s1, 0
	s_mov_b32 s2, 0x3fb8aa3b
	s_mov_b32 s3, 0xc2ce8ed0
	;; [unrolled: 1-line block ×3, first 2 shown]
	v_mov_b32_e32 v6, 0x7f800000
	v_mov_b32_e32 v5, 0
.LBB17_29:                              ; =>This Inner Loop Header: Depth=1
	v_lshl_add_u64 v[8:9], v[4:5], 2, s[16:17]
	global_load_dword v9, v[8:9], off
	v_mov_b32_e32 v7, s1
	ds_read_b64 v[10:11], v7
	s_add_i32 s1, s1, 8
	s_add_i32 s0, s0, -1
	v_add_u32_e32 v4, 0x80, v4
	s_cmp_lg_u32 s0, 0
	s_waitcnt lgkmcnt(0)
	v_sub_f32_e32 v7, v10, v1
	v_mul_f32_e32 v8, 0x3fb8aa3b, v7
	v_fma_f32 v10, v7, s2, -v8
	v_rndne_f32_e32 v12, v8
	v_fmac_f32_e32 v10, 0x32a5705f, v7
	v_sub_f32_e32 v8, v8, v12
	v_add_f32_e32 v8, v8, v10
	v_cvt_i32_f32_e32 v12, v12
	v_exp_f32_e32 v10, v8
	v_cmp_ngt_f32_e32 vcc, s3, v7
	v_mov_b32_e32 v8, v11
	v_ldexp_f32 v10, v10, v12
	v_cndmask_b32_e32 v10, 0, v10, vcc
	v_cmp_nlt_f32_e32 vcc, s4, v7
	s_nop 1
	v_cndmask_b32_e32 v10, v6, v10, vcc
	s_waitcnt vmcnt(0)
	v_pk_fma_f32 v[2:3], v[10:11], v[8:9], v[2:3] op_sel_hi:[0,1,1]
	s_cbranch_scc1 .LBB17_29
.LBB17_30:
	s_waitcnt lgkmcnt(0)
	v_div_scale_f32 v1, s[0:1], v2, v2, v3
	v_rcp_f32_e32 v4, v1
	v_div_scale_f32 v5, vcc, v3, v2, v3
	v_fma_f32 v6, -v1, v4, 1.0
	v_fmac_f32_e32 v4, v6, v4
	v_mul_f32_e32 v6, v5, v4
	v_fma_f32 v7, -v1, v6, v5
	v_fmac_f32_e32 v6, v7, v4
	v_fma_f32 v1, -v1, v6, v5
	v_div_fmas_f32 v1, v1, v4, v6
	v_div_fixup_f32 v1, v1, v2, v3
.LBB17_31:
	s_lshl_b32 s0, s18, 7
	s_ashr_i32 s1, s0, 31
	s_lshl_b64 s[0:1], s[0:1], 2
	s_add_u32 s0, s14, s0
	s_addc_u32 s1, s15, s1
	v_lshlrev_b32_e32 v0, 2, v0
	global_store_dword v0, v1, s[0:1]
	s_endpgm
	.section	.rodata,"a",@progbits
	.p2align	6, 0x0
	.amdhsa_kernel _ZL26flash_attn_combine_resultsILi128EEvPKfPK15HIP_vector_typeIfLj2EEPfi
		.amdhsa_group_segment_fixed_size 0
		.amdhsa_private_segment_fixed_size 0
		.amdhsa_kernarg_size 288
		.amdhsa_user_sgpr_count 2
		.amdhsa_user_sgpr_dispatch_ptr 0
		.amdhsa_user_sgpr_queue_ptr 0
		.amdhsa_user_sgpr_kernarg_segment_ptr 1
		.amdhsa_user_sgpr_dispatch_id 0
		.amdhsa_user_sgpr_kernarg_preload_length 0
		.amdhsa_user_sgpr_kernarg_preload_offset 0
		.amdhsa_user_sgpr_private_segment_size 0
		.amdhsa_uses_dynamic_stack 0
		.amdhsa_enable_private_segment 0
		.amdhsa_system_sgpr_workgroup_id_x 1
		.amdhsa_system_sgpr_workgroup_id_y 1
		.amdhsa_system_sgpr_workgroup_id_z 1
		.amdhsa_system_sgpr_workgroup_info 0
		.amdhsa_system_vgpr_workitem_id 0
		.amdhsa_next_free_vgpr 59
		.amdhsa_next_free_sgpr 26
		.amdhsa_accum_offset 60
		.amdhsa_reserve_vcc 1
		.amdhsa_float_round_mode_32 0
		.amdhsa_float_round_mode_16_64 0
		.amdhsa_float_denorm_mode_32 3
		.amdhsa_float_denorm_mode_16_64 3
		.amdhsa_dx10_clamp 1
		.amdhsa_ieee_mode 1
		.amdhsa_fp16_overflow 0
		.amdhsa_tg_split 0
		.amdhsa_exception_fp_ieee_invalid_op 0
		.amdhsa_exception_fp_denorm_src 0
		.amdhsa_exception_fp_ieee_div_zero 0
		.amdhsa_exception_fp_ieee_overflow 0
		.amdhsa_exception_fp_ieee_underflow 0
		.amdhsa_exception_fp_ieee_inexact 0
		.amdhsa_exception_int_div_zero 0
	.end_amdhsa_kernel
	.section	.text._ZL26flash_attn_combine_resultsILi128EEvPKfPK15HIP_vector_typeIfLj2EEPfi,"axG",@progbits,_ZL26flash_attn_combine_resultsILi128EEvPKfPK15HIP_vector_typeIfLj2EEPfi,comdat
.Lfunc_end17:
	.size	_ZL26flash_attn_combine_resultsILi128EEvPKfPK15HIP_vector_typeIfLj2EEPfi, .Lfunc_end17-_ZL26flash_attn_combine_resultsILi128EEvPKfPK15HIP_vector_typeIfLj2EEPfi
                                        ; -- End function
	.set _ZL26flash_attn_combine_resultsILi128EEvPKfPK15HIP_vector_typeIfLj2EEPfi.num_vgpr, 59
	.set _ZL26flash_attn_combine_resultsILi128EEvPKfPK15HIP_vector_typeIfLj2EEPfi.num_agpr, 0
	.set _ZL26flash_attn_combine_resultsILi128EEvPKfPK15HIP_vector_typeIfLj2EEPfi.numbered_sgpr, 26
	.set _ZL26flash_attn_combine_resultsILi128EEvPKfPK15HIP_vector_typeIfLj2EEPfi.num_named_barrier, 0
	.set _ZL26flash_attn_combine_resultsILi128EEvPKfPK15HIP_vector_typeIfLj2EEPfi.private_seg_size, 0
	.set _ZL26flash_attn_combine_resultsILi128EEvPKfPK15HIP_vector_typeIfLj2EEPfi.uses_vcc, 1
	.set _ZL26flash_attn_combine_resultsILi128EEvPKfPK15HIP_vector_typeIfLj2EEPfi.uses_flat_scratch, 0
	.set _ZL26flash_attn_combine_resultsILi128EEvPKfPK15HIP_vector_typeIfLj2EEPfi.has_dyn_sized_stack, 0
	.set _ZL26flash_attn_combine_resultsILi128EEvPKfPK15HIP_vector_typeIfLj2EEPfi.has_recursion, 0
	.set _ZL26flash_attn_combine_resultsILi128EEvPKfPK15HIP_vector_typeIfLj2EEPfi.has_indirect_call, 0
	.section	.AMDGPU.csdata,"",@progbits
; Kernel info:
; codeLenInByte = 2924
; TotalNumSgprs: 32
; NumVgprs: 59
; NumAgprs: 0
; TotalNumVgprs: 59
; ScratchSize: 0
; MemoryBound: 0
; FloatMode: 240
; IeeeMode: 1
; LDSByteSize: 0 bytes/workgroup (compile time only)
; SGPRBlocks: 3
; VGPRBlocks: 7
; NumSGPRsForWavesPerEU: 32
; NumVGPRsForWavesPerEU: 59
; AccumOffset: 60
; Occupancy: 8
; WaveLimiterHint : 0
; COMPUTE_PGM_RSRC2:SCRATCH_EN: 0
; COMPUTE_PGM_RSRC2:USER_SGPR: 2
; COMPUTE_PGM_RSRC2:TRAP_HANDLER: 0
; COMPUTE_PGM_RSRC2:TGID_X_EN: 1
; COMPUTE_PGM_RSRC2:TGID_Y_EN: 1
; COMPUTE_PGM_RSRC2:TGID_Z_EN: 1
; COMPUTE_PGM_RSRC2:TIDIG_COMP_CNT: 0
; COMPUTE_PGM_RSRC3_GFX90A:ACCUM_OFFSET: 14
; COMPUTE_PGM_RSRC3_GFX90A:TG_SPLIT: 0
	.section	.text._ZL18flash_attn_ext_vecILi128ELi1EL9ggml_type7ELS0_7ELb1EEvPKcS2_S2_S2_S2_PKiPfP15HIP_vector_typeIfLj2EEffffjfiS6_IjLj3EEiiiiiiiiiiiliiliiiiil,"axG",@progbits,_ZL18flash_attn_ext_vecILi128ELi1EL9ggml_type7ELS0_7ELb1EEvPKcS2_S2_S2_S2_PKiPfP15HIP_vector_typeIfLj2EEffffjfiS6_IjLj3EEiiiiiiiiiiiliiliiiiil,comdat
	.globl	_ZL18flash_attn_ext_vecILi128ELi1EL9ggml_type7ELS0_7ELb1EEvPKcS2_S2_S2_S2_PKiPfP15HIP_vector_typeIfLj2EEffffjfiS6_IjLj3EEiiiiiiiiiiiliiliiiiil ; -- Begin function _ZL18flash_attn_ext_vecILi128ELi1EL9ggml_type7ELS0_7ELb1EEvPKcS2_S2_S2_S2_PKiPfP15HIP_vector_typeIfLj2EEffffjfiS6_IjLj3EEiiiiiiiiiiiliiliiiiil
	.p2align	8
	.type	_ZL18flash_attn_ext_vecILi128ELi1EL9ggml_type7ELS0_7ELb1EEvPKcS2_S2_S2_S2_PKiPfP15HIP_vector_typeIfLj2EEffffjfiS6_IjLj3EEiiiiiiiiiiiliiliiiiil,@function
_ZL18flash_attn_ext_vecILi128ELi1EL9ggml_type7ELS0_7ELb1EEvPKcS2_S2_S2_S2_PKiPfP15HIP_vector_typeIfLj2EEffffjfiS6_IjLj3EEiiiiiiiiiiiliiliiiiil: ; @_ZL18flash_attn_ext_vecILi128ELi1EL9ggml_type7ELS0_7ELb1EEvPKcS2_S2_S2_S2_PKiPfP15HIP_vector_typeIfLj2EEffffjfiS6_IjLj3EEiiiiiiiiiiiliiliiiiil
; %bb.0:
	s_load_dwordx2 s[34:35], s[0:1], 0x64
	s_load_dwordx2 s[42:43], s[0:1], 0x80
	;; [unrolled: 1-line block ×3, first 2 shown]
	v_mov_b32_e32 v184, 1.0
	s_waitcnt lgkmcnt(0)
	v_cvt_f32_u32_e32 v1, s35
	s_sub_i32 s5, 0, s35
	v_rcp_iflag_f32_e32 v1, v1
	s_nop 0
	v_mul_f32_e32 v1, 0x4f7ffffe, v1
	v_cvt_u32_f32_e32 v1, v1
	s_nop 0
	v_readfirstlane_b32 s6, v1
	s_mul_i32 s5, s5, s6
	s_mul_hi_u32 s5, s6, s5
	s_add_i32 s6, s6, s5
	s_mul_hi_u32 s5, s4, s6
	s_mul_i32 s6, s5, s35
	s_sub_i32 s6, s4, s6
	s_add_i32 s7, s5, 1
	s_sub_i32 s8, s6, s35
	s_cmp_ge_u32 s6, s35
	s_cselect_b32 s5, s7, s5
	s_cselect_b32 s6, s8, s6
	s_add_i32 s7, s5, 1
	s_cmp_ge_u32 s6, s35
	s_cselect_b32 s33, s7, s5
	s_abs_i32 s5, s43
	v_cvt_f32_u32_e32 v1, s5
	s_mul_i32 s14, s33, s35
	s_sub_i32 s15, 0, s5
	s_sub_i32 s40, s4, s14
	v_rcp_iflag_f32_e32 v1, v1
	s_abs_i32 s7, s35
	s_xor_b32 s6, s35, s43
	s_ashr_i32 s6, s6, 31
	v_mul_f32_e32 v1, 0x4f7ffffe, v1
	v_cvt_u32_f32_e32 v1, v1
	s_load_dwordx4 s[8:11], s[0:1], 0x40
	s_load_dwordx2 s[44:45], s[0:1], 0x50
	v_readfirstlane_b32 s4, v1
	s_mul_i32 s15, s15, s4
	s_mul_hi_u32 s14, s4, s15
	s_add_i32 s4, s4, s14
	s_mul_hi_u32 s4, s7, s4
	s_mul_i32 s14, s4, s5
	s_sub_i32 s7, s7, s14
	s_add_i32 s15, s4, 1
	s_sub_i32 s14, s7, s5
	s_cmp_ge_u32 s7, s5
	s_cselect_b32 s4, s15, s4
	s_cselect_b32 s7, s14, s7
	s_add_i32 s14, s4, 1
	s_cmp_ge_u32 s7, s5
	s_cselect_b32 s4, s14, s4
	s_xor_b32 s4, s4, s6
	s_sub_i32 s36, s4, s6
	s_abs_i32 s12, s12
	s_abs_i32 s47, s36
	v_cvt_f32_u32_e32 v1, s12
	v_cvt_f32_u32_e32 v2, s47
	s_sub_i32 s4, 0, s12
	s_sub_i32 s5, 0, s47
	v_rcp_iflag_f32_e32 v1, v1
	v_rcp_iflag_f32_e32 v2, v2
	s_abs_i32 s48, s40
	s_abs_i32 s46, s33
	v_mul_f32_e32 v1, 0x4f7ffffe, v1
	v_mul_f32_e32 v2, 0x4f7ffffe, v2
	v_cvt_u32_f32_e32 v1, v1
	v_cvt_u32_f32_e32 v2, v2
	v_readfirstlane_b32 s15, v1
	v_readfirstlane_b32 s14, v2
	s_mul_i32 s4, s4, s15
	s_mul_i32 s5, s5, s14
	s_mul_hi_u32 s5, s14, s5
	s_mul_hi_u32 s4, s15, s4
	s_add_i32 s14, s14, s5
	s_add_i32 s15, s15, s4
	s_waitcnt lgkmcnt(0)
	v_cmp_le_f32_e64 s[4:5], s9, 0
	s_and_b64 vcc, exec, s[4:5]
	s_cbranch_vccnz .LBB18_2
; %bb.1:
	v_mov_b32_e32 v1, s44
	v_sub_co_u32_e32 v1, vcc, s40, v1
	v_mov_b32_e32 v2, s11
	v_mov_b32_e32 v3, s10
	s_add_i32 s4, s40, 1
	v_lshlrev_b32_e32 v1, 1, v1
	v_cndmask_b32_e32 v2, v2, v3, vcc
	v_or_b32_e32 v1, 1, v1
	v_mov_b32_e32 v3, s4
	v_cndmask_b32_e32 v1, v1, v3, vcc
	v_cvt_f32_i32_e32 v1, v1
	v_cmp_neq_f32_e32 vcc, 1.0, v2
	s_mov_b32 s4, 0x3f2aaaab
	s_movk_i32 s6, 0x204
	v_cndmask_b32_e32 v1, 1.0, v1, vcc
	v_cmp_neq_f32_e32 vcc, 0, v1
	s_mov_b32 s5, 0x42b17218
	s_mov_b32 s7, 0x3fb8aa3b
	v_cndmask_b32_e32 v18, 1.0, v2, vcc
	v_frexp_mant_f32_e64 v2, |v18|
	v_cmp_gt_f32_e32 vcc, s4, v2
	s_mov_b32 s4, 0x3f317218
	s_brev_b32 s16, -2
	v_cndmask_b32_e64 v3, 1.0, 2.0, vcc
	v_mul_f32_e32 v2, v2, v3
	v_add_f32_e32 v5, 1.0, v2
	v_rcp_f32_e32 v10, v5
	v_add_f32_e32 v3, -1.0, v5
	v_sub_f32_e32 v7, v2, v3
	v_add_f32_e32 v3, -1.0, v2
	v_mul_f32_e32 v11, v3, v10
	v_mul_f32_e32 v4, v5, v11
	v_fma_f32 v6, v11, v5, -v4
	v_fmac_f32_e32 v6, v11, v7
	v_add_f32_e32 v2, v4, v6
	v_sub_f32_e32 v5, v3, v2
	v_pk_add_f32 v[8:9], v[2:3], v[4:5] neg_lo:[0,1] neg_hi:[0,1]
	v_mov_b32_e32 v7, v2
	v_pk_add_f32 v[2:3], v[8:9], v[6:7] neg_lo:[0,1] neg_hi:[0,1]
	v_mov_b32_e32 v6, 0x3e91f4c4
	v_add_f32_e32 v2, v2, v3
	v_add_f32_e32 v2, v5, v2
	v_mul_f32_e32 v3, v10, v2
	v_add_f32_e32 v2, v11, v3
	v_sub_f32_e32 v4, v2, v11
	v_sub_f32_e32 v12, v3, v4
	v_mul_f32_e32 v3, v2, v2
	v_fma_f32 v5, v2, v2, -v3
	v_add_f32_e32 v4, v12, v12
	v_fmac_f32_e32 v5, v2, v4
	v_add_f32_e32 v4, v3, v5
	v_fmac_f32_e32 v6, 0x3e76c4e1, v4
	v_fmaak_f32 v6, v4, v6, 0x3ecccdef
	v_sub_f32_e32 v3, v4, v3
	v_sub_f32_e32 v13, v5, v3
	v_mul_f32_e32 v3, v4, v6
	v_fma_f32 v5, v4, v6, -v3
	v_fmac_f32_e32 v5, v13, v6
	v_add_f32_e32 v6, v3, v5
	v_add_f32_e32 v7, 0x3f2aaaaa, v6
	v_sub_f32_e32 v3, v6, v3
	v_sub_f32_e32 v3, v5, v3
	v_add_f32_e32 v5, 0xbf2aaaaa, v7
	v_add_f32_e32 v3, 0x31739010, v3
	v_sub_f32_e32 v5, v6, v5
	v_pk_mul_f32 v[8:9], v[2:3], v[4:5]
	v_pk_add_f32 v[10:11], v[2:3], v[4:5]
	v_fma_f32 v6, v4, v2, -v8
	v_fmac_f32_e32 v6, v4, v12
	v_mov_b32_e32 v9, v11
	v_fmac_f32_e32 v6, v13, v2
	v_pk_add_f32 v[4:5], v[8:9], v[6:7]
	v_ldexp_f32 v14, v12, 1
	v_sub_f32_e32 v3, v4, v8
	v_sub_f32_e32 v3, v6, v3
	;; [unrolled: 1-line block ×3, first 2 shown]
	v_add_f32_e32 v9, v11, v6
	v_pk_mul_f32 v[6:7], v[4:5], v[4:5] op_sel:[0,1] op_sel_hi:[1,0]
	v_cvt_f64_f32_e64 v[10:11], |v18|
	v_frexp_exp_i32_f64_e32 v7, v[10:11]
	v_subbrev_co_u32_e32 v7, vcc, 0, v7, vcc
	v_cvt_f32_i32_e32 v7, v7
	v_fma_f32 v8, v4, v5, -v6
	v_fmac_f32_e32 v8, v4, v9
	v_fmac_f32_e32 v8, v3, v5
	v_mul_f32_e32 v4, 0x3f317218, v7
	v_fma_f32 v3, v7, s4, -v4
	v_fmamk_f32 v10, v7, 0xb102e308, v3
	v_ldexp_f32 v11, v2, 1
	v_add_f32_e32 v5, v6, v8
	v_pk_add_f32 v[2:3], v[4:5], v[10:11]
	v_mov_b32_e32 v12, v5
	v_mov_b32_e32 v13, v3
	;; [unrolled: 1-line block ×3, first 2 shown]
	v_pk_add_f32 v[6:7], v[12:13], v[6:7] neg_lo:[0,1] neg_hi:[0,1]
	v_mov_b32_e32 v9, v5
	v_pk_add_f32 v[6:7], v[8:9], v[6:7] neg_lo:[0,1] neg_hi:[0,1]
	v_mov_b32_e32 v11, v2
	v_add_f32_e32 v5, v14, v6
	v_add_f32_e32 v5, v5, v7
	v_pk_add_f32 v[6:7], v[2:3], v[4:5] neg_lo:[0,1] neg_hi:[0,1]
	v_pk_add_f32 v[8:9], v[2:3], v[4:5]
	v_mov_b32_e32 v16, v3
	v_mov_b32_e32 v7, v9
	v_pk_add_f32 v[12:13], v[10:11], v[6:7] neg_lo:[0,1] neg_hi:[0,1]
	v_pk_add_f32 v[6:7], v[10:11], v[6:7]
	v_mov_b32_e32 v4, v5
	v_pk_add_f32 v[10:11], v[6:7], v[2:3] op_sel:[1,0] op_sel_hi:[0,1] neg_lo:[0,1] neg_hi:[0,1]
	v_pk_add_f32 v[14:15], v[8:9], v[10:11] op_sel_hi:[1,0] neg_lo:[0,1] neg_hi:[0,1]
	v_mov_b32_e32 v8, v9
	v_mov_b32_e32 v9, v7
	;; [unrolled: 1-line block ×3, first 2 shown]
	v_pk_add_f32 v[8:9], v[8:9], v[16:17] neg_lo:[0,1] neg_hi:[0,1]
	v_mov_b32_e32 v5, v2
	v_pk_add_f32 v[2:3], v[4:5], v[8:9] neg_lo:[0,1] neg_hi:[0,1]
	v_mov_b32_e32 v14, v12
	v_pk_add_f32 v[4:5], v[14:15], v[2:3]
	v_mov_b32_e32 v13, v7
	v_pk_add_f32 v[8:9], v[4:5], v[4:5] op_sel:[0,1] op_sel_hi:[1,0]
	s_mov_b32 s4, 0x7f800000
	v_pk_add_f32 v[6:7], v[6:7], v[8:9] op_sel:[1,0] op_sel_hi:[0,1]
	v_mov_b32_e32 v5, v6
	v_pk_add_f32 v[10:11], v[4:5], v[12:13] neg_lo:[0,1] neg_hi:[0,1]
	v_mov_b32_e32 v3, v8
	v_sub_f32_e32 v4, v4, v10
	v_pk_add_f32 v[2:3], v[2:3], v[10:11] neg_lo:[0,1] neg_hi:[0,1]
	v_sub_f32_e32 v4, v12, v4
	v_add_f32_e32 v2, v2, v4
	v_add_f32_e32 v2, v2, v3
	;; [unrolled: 1-line block ×3, first 2 shown]
	v_sub_f32_e32 v4, v3, v6
	v_sub_f32_e32 v2, v2, v4
	v_mul_f32_e32 v4, v1, v3
	v_fma_f32 v3, v1, v3, -v4
	v_fmac_f32_e32 v3, v1, v2
	v_add_f32_e32 v2, v4, v3
	v_cmp_class_f32_e64 vcc, v4, s6
	v_sub_f32_e32 v5, v2, v4
	v_sub_f32_e32 v3, v3, v5
	v_cndmask_b32_e32 v2, v2, v4, vcc
	v_mov_b32_e32 v4, 0x37000000
	v_cmp_eq_f32_e32 vcc, s5, v2
	v_cmp_class_f32_e64 s[10:11], v18, s6
	s_nop 0
	v_cndmask_b32_e32 v4, 0, v4, vcc
	v_sub_f32_e32 v5, v2, v4
	v_mul_f32_e32 v6, 0x3fb8aa3b, v5
	v_fma_f32 v7, v5, s7, -v6
	v_rndne_f32_e32 v8, v6
	v_fmamk_f32 v7, v5, 0x32a5705f, v7
	v_sub_f32_e32 v6, v6, v8
	v_add_f32_e32 v6, v6, v7
	v_exp_f32_e32 v6, v6
	v_cvt_i32_f32_e32 v7, v8
	v_cmp_neq_f32_e64 vcc, |v2|, s4
	s_mov_b32 s4, 0xc2ce8ed0
	s_nop 0
	v_cndmask_b32_e32 v2, 0, v3, vcc
	v_ldexp_f32 v3, v6, v7
	v_cmp_ngt_f32_e32 vcc, s4, v5
	v_add_f32_e32 v2, v4, v2
	v_mov_b32_e32 v4, 0x7f800000
	v_cndmask_b32_e32 v3, 0, v3, vcc
	v_cmp_nlt_f32_e32 vcc, s5, v5
	v_mov_b32_e32 v5, 0x7fc00000
	s_nop 0
	v_cndmask_b32_e32 v3, v4, v3, vcc
	v_fma_f32 v2, v3, v2, v3
	v_cmp_class_f32_e64 vcc, v3, s6
	v_cmp_gt_f32_e64 s[6:7], 0, v1
	s_nop 0
	v_cndmask_b32_e32 v2, v2, v3, vcc
	v_trunc_f32_e32 v3, v1
	v_cmp_eq_f32_e32 vcc, v3, v1
	v_mul_f32_e32 v3, 0.5, v1
	v_trunc_f32_e32 v6, v3
	v_cmp_neq_f32_e64 s[4:5], v6, v3
	s_and_b64 s[4:5], vcc, s[4:5]
	s_nop 0
	v_cndmask_b32_e64 v3, 1.0, v18, s[4:5]
	v_bfi_b32 v2, s16, v2, v3
	v_cndmask_b32_e32 v3, v5, v2, vcc
	v_cmp_gt_f32_e32 vcc, 0, v18
	s_nop 1
	v_cndmask_b32_e32 v2, v2, v3, vcc
	v_cmp_eq_f32_e32 vcc, 0, v18
	s_xor_b64 s[6:7], s[6:7], vcc
	v_cndmask_b32_e64 v1, v4, 0, s[6:7]
	v_cndmask_b32_e64 v3, 0, v18, s[4:5]
	v_bfi_b32 v1, s16, v1, v3
	s_or_b64 vcc, vcc, s[10:11]
	v_cndmask_b32_e32 v1, v2, v1, vcc
	v_cmp_o_f32_e32 vcc, v18, v18
	s_nop 1
	v_cndmask_b32_e32 v184, v5, v1, vcc
.LBB18_2:
	s_load_dwordx16 s[16:31], s[0:1], 0x0
	v_bfe_u32 v180, v0, 10, 10
	s_mul_hi_u32 s11, s48, s14
	s_mul_hi_u32 s10, s46, s15
	v_and_b32_e32 v181, 0x3ff, v0
	v_cmp_eq_u32_e64 s[14:15], 0, v180
	v_mbcnt_lo_u32_b32 v182, -1, 0
	s_and_saveexec_b64 s[4:5], s[14:15]
	s_cbranch_execz .LBB18_7
; %bb.3:
	s_load_dwordx4 s[52:55], s[0:1], 0x70
	v_lshlrev_b32_e32 v0, 4, v181
	v_mbcnt_hi_u32_b32 v2, -1, v182
	v_xor_b32_e32 v1, 4, v2
	v_xor_b32_e32 v3, 2, v2
	s_waitcnt lgkmcnt(0)
	s_mul_i32 s6, s33, s54
	s_mul_i32 s37, s52, s2
	;; [unrolled: 1-line block ×3, first 2 shown]
	s_add_i32 s6, s6, s37
	s_add_i32 s6, s6, s7
	s_ashr_i32 s7, s6, 31
	s_add_u32 s6, s16, s6
	s_addc_u32 s7, s17, s7
	global_load_dwordx4 v[8:11], v0, s[6:7]
	v_and_b32_e32 v0, 0x60, v2
	v_add_u32_e32 v7, 32, v0
	v_cmp_lt_i32_e32 vcc, v1, v7
	v_xor_b32_e32 v4, 1, v2
	s_waitcnt vmcnt(0)
	v_mul_f32_e32 v6, s8, v8
	v_cndmask_b32_e32 v0, v2, v1, vcc
	v_cmp_lt_i32_e32 vcc, v3, v7
	v_mul_f32_e32 v5, s8, v10
	s_nop 0
	v_cndmask_b32_e32 v1, v2, v3, vcc
	v_lshlrev_b32_e32 v3, 2, v0
	v_lshlrev_b32_e32 v12, 2, v1
	v_mov_b32_e32 v0, v11
	v_mov_b32_e32 v1, v9
	v_pk_mul_f32 v[0:1], s[8:9], v[0:1] op_sel_hi:[0,1]
	v_max_f32_e64 v9, |v6|, |v1|
	v_max3_f32 v9, v9, |v5|, |v0|
	ds_bpermute_b32 v11, v3, v9
	v_fma_f32 v8, s8, v8, v1
	v_fmac_f32_e32 v8, s8, v10
	v_add_f32_e32 v8, v8, v0
	ds_bpermute_b32 v3, v3, v8
	s_waitcnt lgkmcnt(1)
	v_max_f32_e32 v10, v11, v11
	v_max_f32_e32 v9, v9, v10
	ds_bpermute_b32 v10, v12, v9
	v_cmp_lt_i32_e32 vcc, v4, v7
	s_waitcnt lgkmcnt(1)
	v_add_f32_e32 v3, v8, v3
	s_mov_b32 s8, 0x42fe0000
	v_cndmask_b32_e32 v2, v2, v4, vcc
	s_waitcnt lgkmcnt(0)
	v_max_f32_e32 v7, v10, v10
	v_lshlrev_b32_e32 v2, 2, v2
	v_max_f32_e32 v8, v9, v7
	ds_bpermute_b32 v4, v12, v3
	ds_bpermute_b32 v9, v2, v8
	v_mov_b32_e32 v7, 0
	s_waitcnt lgkmcnt(1)
	v_add_f32_e32 v3, v3, v4
	s_waitcnt lgkmcnt(0)
	v_max_f32_e32 v4, v9, v9
	v_max_f32_e32 v8, v8, v4
	v_div_scale_f32 v9, s[6:7], s8, s8, v8
	v_rcp_f32_e32 v10, v9
	ds_bpermute_b32 v4, v2, v3
	v_div_scale_f32 v2, vcc, v8, s8, v8
	v_fma_f32 v11, -v9, v10, 1.0
	v_fmac_f32_e32 v10, v11, v10
	v_mul_f32_e32 v11, v2, v10
	v_fma_f32 v12, -v9, v11, v2
	v_fmac_f32_e32 v11, v12, v10
	v_fma_f32 v2, -v9, v11, v2
	v_div_fmas_f32 v2, v2, v10, v11
	v_div_fixup_f32 v2, v2, s8, v8
	v_cmp_neq_f32_e32 vcc, 0, v2
	s_and_saveexec_b64 s[6:7], vcc
	s_cbranch_execz .LBB18_5
; %bb.4:
	v_div_scale_f32 v7, s[8:9], v2, v2, v6
	v_rcp_f32_e32 v8, v7
	v_div_scale_f32 v9, vcc, v6, v2, v6
	s_brev_b32 s16, -2
	v_fma_f32 v10, -v7, v8, 1.0
	v_fmac_f32_e32 v8, v10, v8
	v_mul_f32_e32 v10, v9, v8
	v_fma_f32 v11, -v7, v10, v9
	v_fmac_f32_e32 v10, v11, v8
	v_fma_f32 v7, -v7, v10, v9
	v_div_fmas_f32 v7, v7, v8, v10
	v_div_fixup_f32 v6, v7, v2, v6
	v_trunc_f32_e32 v7, v6
	v_sub_f32_e32 v8, v6, v7
	v_cmp_ge_f32_e64 s[8:9], |v8|, 0.5
	s_nop 1
	v_cndmask_b32_e64 v8, 0, 1.0, s[8:9]
	v_div_scale_f32 v9, s[8:9], v2, v2, v0
	v_rcp_f32_e32 v10, v9
	v_bfi_b32 v6, s16, v8, v6
	v_add_f32_e32 v6, v7, v6
	v_cvt_i32_f32_e32 v6, v6
	v_fma_f32 v7, -v9, v10, 1.0
	v_fmac_f32_e32 v10, v7, v10
	v_div_scale_f32 v7, vcc, v0, v2, v0
	v_mul_f32_e32 v8, v7, v10
	v_fma_f32 v11, -v9, v8, v7
	v_fmac_f32_e32 v8, v11, v10
	v_div_scale_f32 v11, s[8:9], v2, v2, v1
	v_rcp_f32_e32 v12, v11
	v_fma_f32 v7, -v9, v8, v7
	v_div_fmas_f32 v7, v7, v10, v8
	v_div_fixup_f32 v0, v7, v2, v0
	v_fma_f32 v8, -v11, v12, 1.0
	v_fmac_f32_e32 v12, v8, v12
	v_div_scale_f32 v8, vcc, v1, v2, v1
	v_mul_f32_e32 v9, v8, v12
	v_fma_f32 v10, -v11, v9, v8
	v_fmac_f32_e32 v9, v10, v12
	v_div_scale_f32 v10, s[8:9], v2, v2, v5
	v_rcp_f32_e32 v13, v10
	v_fma_f32 v8, -v11, v9, v8
	v_div_fmas_f32 v8, v8, v12, v9
	v_div_fixup_f32 v1, v8, v2, v1
	v_fma_f32 v9, -v10, v13, 1.0
	v_fmac_f32_e32 v13, v9, v13
	v_div_scale_f32 v9, vcc, v5, v2, v5
	v_mul_f32_e32 v11, v9, v13
	v_fma_f32 v12, -v10, v11, v9
	v_fmac_f32_e32 v11, v12, v13
	v_fma_f32 v9, -v10, v11, v9
	v_div_fmas_f32 v9, v9, v13, v11
	v_div_fixup_f32 v5, v9, v2, v5
	v_trunc_f32_e32 v9, v5
	v_sub_f32_e32 v10, v5, v9
	v_trunc_f32_e32 v7, v1
	v_cmp_ge_f32_e64 s[8:9], |v10|, 0.5
	v_sub_f32_e32 v8, v1, v7
	s_nop 0
	v_cndmask_b32_e64 v10, 0, 1.0, s[8:9]
	v_cmp_ge_f32_e64 s[8:9], |v8|, 0.5
	v_bfi_b32 v5, s16, v10, v5
	v_add_f32_e32 v5, v9, v5
	v_cndmask_b32_e64 v8, 0, 1.0, s[8:9]
	v_bfi_b32 v1, s16, v8, v1
	v_add_f32_e32 v1, v7, v1
	v_trunc_f32_e32 v7, v0
	v_sub_f32_e32 v8, v0, v7
	v_cmp_ge_f32_e64 s[8:9], |v8|, 0.5
	v_cvt_i32_f32_e32 v5, v5
	v_cvt_i32_f32_e32 v1, v1
	v_cndmask_b32_e64 v8, 0, 1.0, s[8:9]
	v_bfi_b32 v0, s16, v8, v0
	v_add_f32_e32 v0, v7, v0
	v_cvt_i32_f32_e32 v0, v0
	v_and_b32_e32 v5, 0xff, v5
	v_lshlrev_b32_e32 v5, 16, v5
	v_mov_b32_e32 v7, 8
	v_lshlrev_b32_sdwa v1, v7, v1 dst_sel:DWORD dst_unused:UNUSED_PAD src0_sel:DWORD src1_sel:BYTE_0
	v_lshl_or_b32 v0, v0, 24, v5
	v_and_b32_e32 v5, 0xff, v6
	v_or3_b32 v7, v0, v1, v5
.LBB18_5:
	s_or_b64 exec, exec, s[6:7]
	v_and_b32_e32 v1, 7, v181
	v_lshlrev_b32_e32 v0, 2, v181
	v_cmp_eq_u32_e32 vcc, 0, v1
	ds_write_b32 v0, v7
	s_and_b64 exec, exec, vcc
	s_cbranch_execz .LBB18_7
; %bb.6:
	s_waitcnt lgkmcnt(1)
	v_add_f32_e32 v3, v3, v4
	ds_write_b64 v181, v[2:3] offset:128
.LBB18_7:
	s_or_b64 exec, exec, s[4:5]
	v_and_b32_e32 v43, 3, v181
	v_lshlrev_b32_e32 v24, 2, v43
	v_mov_b32_e32 v187, 0
	s_waitcnt lgkmcnt(0)
	s_barrier
	ds_read2_b32 v[26:27], v24 offset1:4
	ds_read2_b32 v[28:29], v24 offset0:8 offset1:12
	ds_read_b128 v[0:3], v187 offset:128
	ds_read_b128 v[4:7], v187 offset:144
	ds_read2_b32 v[30:31], v24 offset0:16 offset1:20
	ds_read2_b32 v[32:33], v24 offset0:24 offset1:28
	s_ashr_i32 s41, s40, 31
	s_ashr_i32 s4, s36, 31
	;; [unrolled: 1-line block ×3, first 2 shown]
	s_cmp_eq_u64 s[26:27], 0
	s_waitcnt lgkmcnt(0)
	s_barrier
	s_cbranch_scc1 .LBB18_9
; %bb.8:
	s_load_dword s5, s[0:1], 0xd0
	s_mov_b32 s9, 0
	s_waitcnt lgkmcnt(0)
	s_mul_i32 s5, s5, s33
	s_add_i32 s8, s5, s2
	s_lshl_b64 s[8:9], s[8:9], 2
	s_add_u32 s8, s26, s8
	s_addc_u32 s9, s27, s9
	s_load_dword s42, s[8:9], 0x0
.LBB18_9:
	v_lshlrev_b32_e32 v42, 5, v180
	v_add_u32_e32 v183, v42, v181
	s_lshl_b32 s16, s3, 7
	s_mov_b32 s27, 0
	s_waitcnt lgkmcnt(0)
	s_cmp_ge_i32 s16, s42
	v_lshlrev_b32_e32 v185, 1, v183
	v_lshlrev_b32_e32 v186, 2, v181
	s_cbranch_scc1 .LBB18_37
; %bb.10:
	s_load_dwordx4 s[36:39], s[0:1], 0x98
	s_load_dwordx2 s[54:55], s[0:1], 0x8c
	s_load_dwordx2 s[8:9], s[0:1], 0xc8
	s_xor_b32 s4, s41, s4
	s_mul_i32 s10, s10, s12
	s_waitcnt lgkmcnt(0)
	s_mul_i32 s7, s37, s33
	s_mul_i32 s37, s36, s6
	s_mul_hi_u32 s5, s36, s33
	s_add_i32 s37, s37, s7
	s_add_i32 s43, s37, s5
	s_mul_i32 s5, s11, s47
	s_sub_i32 s5, s48, s5
	s_add_i32 s7, s11, 1
	s_sub_i32 s17, s5, s47
	s_cmp_ge_u32 s5, s47
	s_cselect_b32 s7, s7, s11
	s_cselect_b32 s5, s17, s5
	s_add_i32 s11, s7, 1
	s_cmp_ge_u32 s5, s47
	s_cselect_b32 s5, s11, s7
	s_xor_b32 s5, s5, s4
	s_sub_i32 s4, s5, s4
	s_mul_i32 s52, s4, s55
	s_mul_i32 s56, s4, s39
	s_sub_i32 s4, s46, s10
	s_ashr_i32 s53, s52, 31
	s_ashr_i32 s57, s56, 31
	s_sub_i32 s5, s4, s12
	s_cmp_ge_u32 s4, s12
	s_cselect_b32 s4, s5, s4
	s_sub_i32 s5, s4, s12
	s_cmp_ge_u32 s4, s12
	s_cselect_b32 s4, s5, s4
	s_xor_b32 s4, s4, s6
	s_sub_i32 s7, s4, s6
	s_ashr_i32 s10, s7, 31
	s_load_dword s11, s[0:1], 0xd4
	s_load_dwordx2 s[4:5], s[0:1], 0xa8
	s_mul_i32 s10, s8, s10
	s_mul_hi_u32 s12, s8, s7
	s_add_i32 s10, s12, s10
	s_mul_i32 s9, s9, s7
	s_mul_i32 s26, s13, s2
	s_add_i32 s10, s10, s9
	s_ashr_i32 s39, s26, 31
	s_cmp_lg_u64 s[22:23], 0
	s_cselect_b64 s[46:47], -1, 0
	s_waitcnt lgkmcnt(0)
	s_lshl_b32 s48, s11, 7
	s_mov_b32 s17, s27
	s_add_u32 s12, s18, s52
	s_mul_i32 s7, s8, s7
	s_addc_u32 s13, s19, s53
	s_lshl_b64 s[8:9], s[16:17], 1
	s_add_u32 s7, s7, s8
	s_addc_u32 s8, s10, s9
	s_add_u32 s9, s22, s26
	v_bfe_u32 v8, v181, 3, 27
	v_mul_lo_u32 v10, v42, s38
	s_addc_u32 s10, s23, s39
	v_add_u32_e32 v14, s38, v10
	v_mov_b32_e32 v187, s33
	s_add_u32 s58, s9, s7
	v_mul_hi_u32_u24_e32 v9, 24, v8
	v_mul_u32_u24_e32 v8, 24, v8
	s_mul_i32 s5, s5, s33
	s_mul_i32 s6, s4, s6
	v_add_u32_e32 v18, s38, v14
	s_addc_u32 s59, s10, s8
	s_add_i32 s6, s6, s5
	v_mad_u64_u32 v[12:13], s[4:5], s4, v187, v[8:9]
	v_mov_b32_e32 v25, 0
	v_add_u32_e32 v22, s38, v18
	v_add_u32_e32 v13, s6, v13
	;; [unrolled: 1-line block ×3, first 2 shown]
	v_lshl_add_u64 v[16:17], v[12:13], 0, v[24:25]
	v_ashrrev_i32_e32 v45, 31, v44
	v_lshl_add_u64 v[38:39], v[12:13], 0, s[56:57]
	v_lshl_add_u64 v[40:41], v[16:17], 0, s[56:57]
	v_add_u32_e32 v46, s38, v44
	v_lshl_add_u64 v[58:59], v[38:39], 0, v[44:45]
	v_lshl_add_u64 v[62:63], v[40:41], 0, v[44:45]
	v_add_u32_e32 v44, 31, v42
	v_mul_lo_u32 v44, s38, v44
	v_ashrrev_i32_e32 v45, 31, v44
	v_lshl_add_u64 v[100:101], v[40:41], 0, v[44:45]
	v_lshl_add_u64 v[104:105], v[38:39], 0, v[44:45]
	v_add_u32_e32 v44, 30, v42
	v_mul_lo_u32 v44, s38, v44
	v_ashrrev_i32_e32 v45, 31, v44
	;; [unrolled: 5-line block ×5, first 2 shown]
	v_lshl_add_u64 v[124:125], v[40:41], 0, v[44:45]
	v_lshl_add_u64 v[128:129], v[38:39], 0, v[44:45]
	v_add_u32_e32 v44, 26, v42
	v_add_u32_e32 v48, s38, v46
	v_mul_lo_u32 v44, s38, v44
	v_add_u32_e32 v50, s38, v48
	v_ashrrev_i32_e32 v45, 31, v44
	v_add_u32_e32 v52, s38, v50
	v_lshl_add_u64 v[130:131], v[40:41], 0, v[44:45]
	v_lshl_add_u64 v[134:135], v[38:39], 0, v[44:45]
	v_add_u32_e32 v44, 25, v42
	v_add_u32_e32 v54, s38, v52
	v_mul_lo_u32 v44, s38, v44
	v_add_u32_e32 v56, s38, v54
	v_ashrrev_i32_e32 v45, 31, v44
	v_add_u32_e32 v60, s38, v56
	;; [unrolled: 8-line block ×3, first 2 shown]
	v_lshl_add_u64 v[142:143], v[40:41], 0, v[44:45]
	v_lshl_add_u64 v[146:147], v[38:39], 0, v[44:45]
	v_add_u32_e32 v44, 23, v42
	v_add_u32_e32 v96, s38, v82
	v_mul_lo_u32 v44, s38, v44
	v_add_u32_e32 v36, s38, v96
	v_ashrrev_i32_e32 v45, 31, v44
	v_ashrrev_i32_e32 v37, 31, v36
	v_lshl_add_u64 v[148:149], v[40:41], 0, v[44:45]
	v_lshl_add_u64 v[152:153], v[38:39], 0, v[44:45]
	v_add_u32_e32 v44, 22, v42
	v_add_u32_e32 v34, s38, v36
	v_mul_lo_u32 v44, s38, v44
	v_lshl_add_u64 v[150:151], v[38:39], 0, v[36:37]
	v_lshl_add_u64 v[156:157], v[40:41], 0, v[36:37]
	v_add_u32_e32 v36, 21, v42
	v_ashrrev_i32_e32 v35, 31, v34
	v_ashrrev_i32_e32 v45, 31, v44
	v_mul_lo_u32 v36, s38, v36
	v_lshl_add_u64 v[154:155], v[40:41], 0, v[44:45]
	v_lshl_add_u64 v[158:159], v[38:39], 0, v[44:45]
	v_ashrrev_i32_e32 v37, 31, v36
	v_add_u32_e32 v44, s38, v34
	v_lshl_add_u64 v[162:163], v[38:39], 0, v[34:35]
	v_lshl_add_u64 v[168:169], v[40:41], 0, v[34:35]
	v_add_u32_e32 v34, 19, v42
	v_lshl_add_u64 v[160:161], v[40:41], 0, v[36:37]
	v_lshl_add_u64 v[164:165], v[38:39], 0, v[36:37]
	v_add_u32_e32 v36, 20, v42
	v_mul_lo_u32 v34, s38, v34
	v_mul_lo_u32 v36, s38, v36
	v_ashrrev_i32_e32 v35, 31, v34
	v_ashrrev_i32_e32 v11, 31, v10
	;; [unrolled: 1-line block ×18, first 2 shown]
	v_lshl_add_u64 v[172:173], v[40:41], 0, v[34:35]
	v_lshl_add_u64 v[176:177], v[38:39], 0, v[34:35]
	v_mbcnt_hi_u32_b32 v34, -1, v182
	v_lshl_add_u64 v[8:9], v[12:13], 0, v[10:11]
	v_lshl_add_u64 v[10:11], v[16:17], 0, v[10:11]
	;; [unrolled: 1-line block ×18, first 2 shown]
	v_and_b32_e32 v39, 0x7c, v34
	v_lshl_add_u64 v[14:15], v[40:41], 0, v[14:15]
	v_lshl_add_u64 v[18:19], v[40:41], 0, v[18:19]
	;; [unrolled: 1-line block ×16, first 2 shown]
	v_add_u32_e32 v39, 4, v39
	v_xor_b32_e32 v41, 2, v34
	v_and_b32_e32 v35, 0x60, v34
	v_xor_b32_e32 v40, 1, v34
	v_cmp_lt_i32_e32 vcc, v41, v39
	v_add_u32_e32 v35, 32, v35
	v_xor_b32_e32 v36, 4, v34
	v_cndmask_b32_e32 v41, v34, v41, vcc
	v_cmp_lt_i32_e32 vcc, v40, v39
	v_xor_b32_e32 v37, 8, v34
	v_xor_b32_e32 v38, 16, v34
	v_cndmask_b32_e32 v39, v34, v40, vcc
	v_cmp_lt_i32_e32 vcc, v36, v35
	s_mul_i32 s22, s54, s16
	s_mul_i32 s50, s48, s54
	v_cndmask_b32_e32 v36, v34, v36, vcc
	v_cmp_lt_i32_e32 vcc, v37, v35
	s_mov_b32 s49, s27
	s_mul_i32 s17, s36, s33
	v_cndmask_b32_e32 v37, v34, v37, vcc
	v_cmp_lt_i32_e32 vcc, v38, v35
	v_and_b32_e32 v35, 0x7c, v181
	v_lshlrev_b32_e32 v189, 2, v39
	v_cndmask_b32_e32 v34, v34, v38, vcc
	v_add_u32_e32 v38, v42, v35
	v_mul_lo_u32 v96, v38, s54
	v_add_u32_e32 v78, s54, v96
	v_add_u32_e32 v60, s54, v78
	;; [unrolled: 1-line block ×3, first 2 shown]
	v_mad_u64_u32 v[82:83], s[54:55], s36, v187, v[24:25]
	v_add_u32_e32 v83, s37, v83
	s_lshl_b64 s[36:37], s[48:49], 1
	s_add_u32 s54, s20, s56
	s_addc_u32 s55, s21, s57
	v_lshl_add_u64 v[8:9], s[54:55], 0, v[8:9]
	v_ashrrev_i32_e32 v61, 31, v60
	v_lshlrev_b32_e32 v190, 2, v36
	v_lshlrev_b32_e32 v36, 1, v38
	v_lshl_add_u64 v[38:39], v[8:9], 0, 4
	v_lshl_add_u64 v[8:9], s[54:55], 0, v[10:11]
	v_lshlrev_b32_e32 v188, 2, v41
	v_lshl_add_u64 v[40:41], v[8:9], 0, 8
	v_lshl_add_u64 v[8:9], v[82:83], 0, v[60:61]
	;; [unrolled: 1-line block ×8, first 2 shown]
	v_ashrrev_i32_e32 v79, 31, v78
	v_lshl_add_u64 v[56:57], v[8:9], 0, 8
	v_lshl_add_u64 v[8:9], s[20:21], 0, v[62:63]
	;; [unrolled: 1-line block ×8, first 2 shown]
	v_ashrrev_i32_e32 v45, 31, v44
	s_add_u32 s54, s12, s17
	v_lshl_add_u64 v[72:73], v[8:9], 0, 8
	v_lshl_add_u64 v[8:9], s[20:21], 0, v[76:77]
	v_ashrrev_i32_e32 v97, 31, v96
	v_lshlrev_b32_e32 v192, 2, v34
	v_lshl_add_u64 v[34:35], v[82:83], 0, v[44:45]
	s_addc_u32 s55, s13, s43
	v_lshl_add_u64 v[76:77], v[8:9], 0, 8
	v_lshl_add_u64 v[8:9], v[82:83], 0, s[52:53]
	;; [unrolled: 1-line block ×4, first 2 shown]
	s_add_u32 s12, s17, s52
	v_lshl_add_u64 v[82:83], s[18:19], 0, v[8:9]
	v_lshl_add_u64 v[8:9], s[20:21], 0, v[84:85]
	s_addc_u32 s13, s43, s53
	v_lshl_add_u64 v[84:85], v[8:9], 0, 8
	v_lshl_add_u64 v[8:9], s[20:21], 0, v[88:89]
	s_add_u32 s12, s18, s12
	v_lshl_add_u64 v[88:89], v[8:9], 0, 8
	v_lshl_add_u64 v[8:9], s[20:21], 0, v[92:93]
	s_addc_u32 s13, s19, s13
	v_lshl_add_u64 v[92:93], v[8:9], 0, 8
	v_lshl_add_u64 v[8:9], s[12:13], 0, v[96:97]
	s_mov_b64 s[12:13], 0x4c
	v_lshl_add_u64 v[96:97], v[8:9], 0, s[12:13]
	v_lshl_add_u64 v[8:9], s[20:21], 0, v[98:99]
	;; [unrolled: 1-line block ×66, first 2 shown]
	v_lshlrev_b32_e32 v191, 2, v37
	v_mov_b32_e32 v37, v25
	v_lshl_add_u64 v[176:177], v[8:9], 0, 4
	v_lshl_add_u64 v[8:9], s[20:21], 0, v[178:179]
	;; [unrolled: 1-line block ×4, first 2 shown]
                                        ; implicit-def: $vgpr8
                                        ; implicit-def: $vgpr8
	;; [unrolled: 1-line block ×3, first 2 shown]
	v_and_b32_e32 v195, 28, v186
	v_cmp_eq_u32_e64 s[4:5], 3, v43
	v_cmp_eq_u32_e64 s[6:7], 0, v43
	;; [unrolled: 1-line block ×4, first 2 shown]
	s_mul_i32 s26, s38, s16
	s_mov_b32 s23, s27
	s_mov_b32 s51, s27
	s_mul_i32 s38, s48, s38
	s_mov_b32 s39, s27
	v_lshlrev_b32_e32 v193, 1, v42
	v_lshl_add_u64 v[36:37], v[36:37], 0, 6
	v_lshl_add_u64 v[42:43], s[54:55], 0, v[44:45]
	;; [unrolled: 1-line block ×22, first 2 shown]
	s_movk_i32 s17, 0x1000
	s_mov_b32 s20, 0x3f200000
	s_mov_b32 s21, 0x3fb8aa3b
	;; [unrolled: 1-line block ×4, first 2 shown]
	s_brev_b32 s49, -2
	s_mov_b32 s52, 0x10001
	v_or_b32_e32 v194, 16, v24
	v_and_b32_e32 v196, 4, v181
	v_or_b32_e32 v197, 1, v195
	v_or_b32_e32 v198, 2, v195
	;; [unrolled: 1-line block ×3, first 2 shown]
	v_mov_b32_e32 v9, 0xfeffffff
	v_mov_b32_e32 v200, 0x3ca908c9
	;; [unrolled: 1-line block ×6, first 2 shown]
                                        ; implicit-def: $vgpr203
.LBB18_11:                              ; =>This Inner Loop Header: Depth=1
	v_lshl_add_u64 v[12:13], v[82:83], 0, s[22:23]
	v_lshl_add_u64 v[10:11], v[96:97], 0, s[22:23]
	global_load_dword v20, v[12:13], off offset:8
	global_load_dwordx2 v[14:15], v[10:11], off offset:-76
	global_load_dword v21, v[12:13], off offset:32
	global_load_dwordx2 v[16:17], v[10:11], off offset:-52
	;; [unrolled: 2-line block ×3, first 2 shown]
	global_load_dword v207, v[12:13], off offset:80
	s_nop 0
	global_load_dwordx2 v[10:11], v[10:11], off offset:-4
	v_mov_b32_e32 v22, 0
	v_mov_b32_e32 v204, 0
	;; [unrolled: 1-line block ×4, first 2 shown]
	s_waitcnt vmcnt(7)
	v_and_b32_e32 v12, 0xf0f0f0f, v20
	s_waitcnt vmcnt(6)
	v_ashrrev_i32_e32 v13, v24, v15
	v_ashrrev_i32_e32 v15, v194, v15
	v_lshrrev_b32_e32 v20, 4, v20
	s_waitcnt vmcnt(4)
	v_ashrrev_i32_e32 v210, v24, v17
	v_cvt_f32_f16_e32 v211, v16
	v_cvt_f32_f16_sdwa v16, v16 dst_sel:DWORD dst_unused:UNUSED_PAD src0_sel:WORD_1
	v_ashrrev_i32_e32 v17, v194, v17
	v_lshlrev_b32_e32 v214, 4, v13
	v_lshlrev_b32_e32 v215, 11, v13
	;; [unrolled: 1-line block ×8, first 2 shown]
	v_and_b32_e32 v209, 0xf0f0f0f, v21
	v_lshrrev_b32_e32 v21, 4, v21
	v_and_b32_e32 v20, 0xf0f0f0f, v20
	v_lshlrev_b32_e32 v223, 4, v17
	v_lshlrev_b32_e32 v224, 11, v17
	;; [unrolled: 1-line block ×4, first 2 shown]
	v_and_b32_e32 v216, 0x100000, v216
	v_and_b32_e32 v13, 0x10000000, v13
	;; [unrolled: 1-line block ×4, first 2 shown]
	v_lshlrev_b32_e32 v220, 4, v210
	v_lshlrev_b32_e32 v221, 11, v210
	;; [unrolled: 1-line block ×4, first 2 shown]
	v_and_b32_e32 v21, 0xf0f0f0f, v21
	v_and_b32_e32 v214, 16, v214
	;; [unrolled: 1-line block ×7, first 2 shown]
	v_or3_b32 v12, v13, v12, v216
	v_or3_b32 v13, v15, v20, v219
	v_cvt_f32_f16_e32 v208, v14
	v_cvt_f32_f16_sdwa v14, v14 dst_sel:DWORD dst_unused:UNUSED_PAD src0_sel:WORD_1
	v_and_b32_e32 v222, 0x100000, v222
	v_and_b32_e32 v210, 0x10000000, v210
	;; [unrolled: 1-line block ×4, first 2 shown]
	v_or3_b32 v17, v17, v21, v225
	v_or3_b32 v20, v12, v214, v215
	;; [unrolled: 1-line block ×3, first 2 shown]
	v_and_b32_e32 v220, 16, v220
	v_and_b32_e32 v221, 0x1000, v221
	v_or3_b32 v15, v210, v209, v222
	v_mul_f32_e32 v209, v3, v16
	v_or3_b32 v16, v17, v223, v224
	v_dot4c_i32_i8_e32 v22, v20, v26
	v_dot4c_i32_i8_e32 v204, v13, v27
	v_or3_b32 v15, v15, v220, v221
	v_dot4c_i32_i8_e32 v206, v16, v29
	v_cvt_f32_i32_e32 v17, v22
	v_cvt_f32_i32_e32 v16, v204
	v_dot4c_i32_i8_e32 v205, v15, v28
	v_mul_f32_e32 v12, v0, v208
	v_mul_f32_e32 v208, v1, v14
	v_cvt_f32_i32_e32 v20, v206
	v_cvt_f32_i32_e32 v21, v205
	v_mul_f32_e32 v22, 0x3e000000, v208
	s_waitcnt vmcnt(3)
	v_pk_fma_f32 v[12:13], v[12:13], v[16:17], v[22:23] op_sel_hi:[0,1,0]
	v_mul_f32_e32 v14, v2, v211
	v_mul_f32_e32 v204, 0x3e000000, v209
	v_add_f32_e32 v13, 0, v13
	v_pk_fma_f32 v[14:15], v[14:15], v[20:21], v[204:205] op_sel_hi:[0,1,0]
	v_add_f32_e32 v12, v12, v13
	s_waitcnt vmcnt(2)
	v_ashrrev_i32_e32 v213, v24, v19
	v_add_f32_e32 v12, v12, v15
	v_lshlrev_b32_e32 v228, 18, v213
	v_add_f32_e32 v15, v14, v12
	v_lshlrev_b32_e32 v12, 25, v213
	v_and_b32_e32 v212, 0xf0f0f0f, v23
	v_lshlrev_b32_e32 v226, 4, v213
	v_lshlrev_b32_e32 v227, 11, v213
	v_and_b32_e32 v228, 0x100000, v228
	v_and_b32_e32 v12, 0x10000000, v12
	;; [unrolled: 1-line block ×4, first 2 shown]
	v_or3_b32 v12, v12, v212, v228
	v_or3_b32 v12, v12, v226, v227
	v_mov_b32_e32 v13, 0
	v_ashrrev_i32_e32 v17, v194, v19
	v_dot4c_i32_i8_e32 v13, v12, v30
	v_cvt_f32_f16_e32 v14, v18
	v_cvt_f32_f16_sdwa v16, v18 dst_sel:DWORD dst_unused:UNUSED_PAD src0_sel:WORD_1
	v_lshrrev_b32_e32 v12, 4, v23
	v_lshlrev_b32_e32 v18, 4, v17
	v_lshlrev_b32_e32 v19, 11, v17
	v_lshlrev_b32_e32 v20, 18, v17
	v_lshlrev_b32_e32 v17, 25, v17
	v_and_b32_e32 v12, 0xf0f0f0f, v12
	v_and_b32_e32 v20, 0x100000, v20
	;; [unrolled: 1-line block ×5, first 2 shown]
	v_or3_b32 v12, v17, v12, v20
	v_or3_b32 v12, v12, v18, v19
	v_mov_b32_e32 v17, 0
	v_dot4c_i32_i8_e32 v17, v12, v31
	v_cvt_f32_i32_e32 v13, v13
	v_mul_f32_e32 v16, v5, v16
	v_mul_f32_e32 v14, v4, v14
	v_cvt_f32_i32_e32 v12, v17
	v_mul_f32_e32 v16, 0x3e000000, v16
	v_pk_fma_f32 v[12:13], v[14:15], v[12:13], v[16:17] op_sel_hi:[0,1,0]
	s_waitcnt vmcnt(0)
	v_ashrrev_i32_e32 v14, v24, v11
	v_add_f32_e32 v13, v15, v13
	v_lshlrev_b32_e32 v15, 4, v14
	v_lshlrev_b32_e32 v16, 11, v14
	;; [unrolled: 1-line block ×4, first 2 shown]
	v_add_f32_e32 v13, v12, v13
	v_and_b32_e32 v12, 0xf0f0f0f, v207
	v_and_b32_e32 v17, 0x100000, v17
	;; [unrolled: 1-line block ×5, first 2 shown]
	v_or3_b32 v12, v14, v12, v17
	v_or3_b32 v12, v12, v15, v16
	v_mov_b32_e32 v14, 0
	v_ashrrev_i32_e32 v11, v194, v11
	v_dot4c_i32_i8_e32 v14, v12, v32
	v_cvt_f32_f16_e32 v12, v10
	v_cvt_f32_f16_sdwa v15, v10 dst_sel:DWORD dst_unused:UNUSED_PAD src0_sel:WORD_1
	v_lshrrev_b32_e32 v10, 4, v207
	v_lshlrev_b32_e32 v16, 4, v11
	v_lshlrev_b32_e32 v17, 11, v11
	v_lshlrev_b32_e32 v18, 18, v11
	v_lshlrev_b32_e32 v11, 25, v11
	v_and_b32_e32 v10, 0xf0f0f0f, v10
	v_and_b32_e32 v18, 0x100000, v18
	;; [unrolled: 1-line block ×5, first 2 shown]
	v_or3_b32 v10, v11, v10, v18
	v_or3_b32 v10, v10, v16, v17
	v_mov_b32_e32 v16, 0
	v_dot4c_i32_i8_e32 v16, v10, v33
	v_cvt_f32_i32_e32 v11, v14
	v_mul_f32_e32 v14, v7, v15
	v_mul_f32_e32 v12, v6, v12
	v_cvt_f32_i32_e32 v10, v16
	v_mul_f32_e32 v14, 0x3e000000, v14
	v_pk_fma_f32 v[10:11], v[12:13], v[10:11], v[14:15] op_sel_hi:[0,1,0]
	v_add_f32_e32 v11, v13, v11
	v_add_f32_e32 v10, v10, v11
	ds_bpermute_b32 v11, v188, v10
	s_waitcnt lgkmcnt(0)
	v_add_f32_e32 v10, v10, v11
	ds_bpermute_b32 v11, v189, v10
	s_waitcnt lgkmcnt(0)
	v_add_f32_e32 v10, v10, v11
	v_cmp_nlt_f32_e64 s[12:13], |v10|, s20
                                        ; implicit-def: $vgpr11
	s_and_saveexec_b64 s[18:19], s[12:13]
	s_xor_b64 s[12:13], exec, s[18:19]
	s_cbranch_execz .LBB18_13
; %bb.12:                               ;   in Loop: Header=BB18_11 Depth=1
	v_add_f32_e64 v11, |v10|, |v10|
	v_mul_f32_e32 v12, 0x3fb8aa3b, v11
	v_rndne_f32_e32 v13, v12
	v_sub_f32_e32 v14, v12, v13
	v_fma_f32 v12, v11, s21, -v12
	v_fmac_f32_e32 v12, 0x32a5705f, v11
	v_add_f32_e32 v12, v14, v12
	v_cvt_i32_f32_e32 v13, v13
	v_exp_f32_e32 v12, v12
	v_cmp_ngt_f32_e32 vcc, s43, v11
	v_ldexp_f32 v12, v12, v13
	s_nop 0
	v_cndmask_b32_e32 v12, 0, v12, vcc
	v_cmp_nlt_f32_e32 vcc, s44, v11
	s_nop 1
	v_cndmask_b32_e32 v11, v201, v12, vcc
	v_add_f32_e32 v11, 1.0, v11
	v_rcp_f32_e32 v11, v11
	s_nop 0
	v_fma_f32 v11, v11, -2.0, 1.0
.LBB18_13:                              ;   in Loop: Header=BB18_11 Depth=1
	s_andn2_saveexec_b64 s[12:13], s[12:13]
; %bb.14:                               ;   in Loop: Header=BB18_11 Depth=1
	v_mul_f32_e32 v11, v10, v10
	v_fmamk_f32 v12, v11, 0xbbbac73d, v200
	v_fmaak_f32 v12, v11, v12, 0xbd5c1c4e
	v_fmaak_f32 v12, v11, v12, 0x3e088382
	v_fmaak_f32 v12, v11, v12, 0xbeaaaa99
	v_mul_f32_e64 v12, |v10|, v12
	v_fma_f32 v11, v11, v12, |v10|
; %bb.15:                               ;   in Loop: Header=BB18_11 Depth=1
	s_or_b64 exec, exec, s[12:13]
	v_bfi_b32 v10, s49, v11, v10
	v_cndmask_b32_e64 v11, 0, 1, s[46:47]
	v_cmp_ne_u32_e64 s[12:13], 1, v11
	s_andn2_b64 vcc, exec, s[46:47]
	v_mul_f32_e32 v10, s45, v10
	s_cbranch_vccnz .LBB18_17
; %bb.16:                               ;   in Loop: Header=BB18_11 Depth=1
	global_load_ushort v11, v[36:37], off offset:-6
	s_waitcnt vmcnt(0)
	v_fma_mix_f32 v10, v184, v11, v10 op_sel_hi:[0,1,0]
.LBB18_17:                              ;   in Loop: Header=BB18_11 Depth=1
	v_lshl_add_u64 v[14:15], v[64:65], 0, s[22:23]
	v_lshl_add_u64 v[12:13], v[78:79], 0, s[22:23]
	global_load_dword v11, v[14:15], off offset:8
	global_load_dwordx2 v[16:17], v[12:13], off
	global_load_dword v22, v[14:15], off offset:32
	global_load_dwordx2 v[18:19], v[12:13], off offset:24
	global_load_dword v205, v[14:15], off offset:56
	global_load_dwordx2 v[20:21], v[12:13], off offset:48
	global_load_dword v208, v[14:15], off offset:80
	s_nop 0
	global_load_dwordx2 v[12:13], v[12:13], off offset:72
	v_mov_b32_e32 v23, 0
	v_mov_b32_e32 v204, 0
	;; [unrolled: 1-line block ×4, first 2 shown]
	s_waitcnt vmcnt(7)
	v_and_b32_e32 v14, 0xf0f0f0f, v11
	s_waitcnt vmcnt(6)
	v_ashrrev_i32_e32 v15, v24, v17
	v_ashrrev_i32_e32 v17, v194, v17
	v_lshrrev_b32_e32 v11, 4, v11
	s_waitcnt vmcnt(4)
	v_ashrrev_i32_e32 v211, v24, v19
	v_ashrrev_i32_e32 v19, v194, v19
	v_lshlrev_b32_e32 v215, 4, v15
	v_lshlrev_b32_e32 v216, 11, v15
	v_lshlrev_b32_e32 v217, 18, v15
	v_lshlrev_b32_e32 v15, 25, v15
	v_lshlrev_b32_e32 v218, 4, v17
	v_lshlrev_b32_e32 v219, 11, v17
	v_lshlrev_b32_e32 v220, 18, v17
	v_lshlrev_b32_e32 v17, 25, v17
	v_and_b32_e32 v210, 0xf0f0f0f, v22
	v_cvt_f32_f16_e32 v212, v18
	v_cvt_f32_f16_sdwa v18, v18 dst_sel:DWORD dst_unused:UNUSED_PAD src0_sel:WORD_1
	v_lshrrev_b32_e32 v22, 4, v22
	v_and_b32_e32 v11, 0xf0f0f0f, v11
	v_lshlrev_b32_e32 v224, 4, v19
	v_lshlrev_b32_e32 v225, 11, v19
	;; [unrolled: 1-line block ×4, first 2 shown]
	v_and_b32_e32 v217, 0x100000, v217
	v_and_b32_e32 v15, 0x10000000, v15
	;; [unrolled: 1-line block ×11, first 2 shown]
	v_or3_b32 v14, v15, v14, v217
	v_or3_b32 v11, v17, v11, v220
	v_cvt_f32_f16_e32 v209, v16
	v_cvt_f32_f16_sdwa v16, v16 dst_sel:DWORD dst_unused:UNUSED_PAD src0_sel:WORD_1
	v_lshlrev_b32_e32 v221, 4, v211
	v_lshlrev_b32_e32 v222, 11, v211
	v_lshlrev_b32_e32 v223, 18, v211
	v_lshlrev_b32_e32 v211, 25, v211
	v_or3_b32 v17, v19, v22, v226
	v_or3_b32 v19, v14, v215, v216
	;; [unrolled: 1-line block ×3, first 2 shown]
	v_and_b32_e32 v223, 0x100000, v223
	v_and_b32_e32 v211, 0x10000000, v211
	v_dot4c_i32_i8_e32 v23, v19, v26
	v_dot4c_i32_i8_e32 v204, v11, v27
	v_or3_b32 v15, v211, v210, v223
	v_mul_f32_e32 v210, v3, v18
	v_cvt_f32_i32_e32 v19, v23
	v_cvt_f32_i32_e32 v18, v204
	v_and_b32_e32 v221, 16, v221
	v_and_b32_e32 v222, 0x1000, v222
	;; [unrolled: 1-line block ×4, first 2 shown]
	v_mul_f32_e32 v14, v0, v209
	v_mul_f32_e32 v209, v1, v16
	v_or3_b32 v15, v15, v221, v222
	v_or3_b32 v17, v17, v224, v225
	v_dot4c_i32_i8_e32 v206, v15, v28
	v_dot4c_i32_i8_e32 v207, v17, v29
	v_mul_f32_e32 v204, 0x3e000000, v209
	s_waitcnt vmcnt(3)
	v_pk_fma_f32 v[14:15], v[14:15], v[18:19], v[204:205] op_sel_hi:[0,1,0]
	v_cvt_f32_i32_e32 v23, v206
	v_cvt_f32_i32_e32 v22, v207
	s_waitcnt vmcnt(2)
	v_ashrrev_i32_e32 v214, v24, v21
	v_add_f32_e32 v11, 0, v15
	v_lshlrev_b32_e32 v229, 18, v214
	v_add_f32_e32 v11, v14, v11
	v_lshlrev_b32_e32 v14, 25, v214
	v_and_b32_e32 v213, 0xf0f0f0f, v205
	v_lshlrev_b32_e32 v227, 4, v214
	v_lshlrev_b32_e32 v228, 11, v214
	v_and_b32_e32 v229, 0x100000, v229
	v_mul_f32_e32 v16, v2, v212
	v_mul_f32_e32 v206, 0x3e000000, v210
	v_and_b32_e32 v14, 0x10000000, v14
	v_and_b32_e32 v227, 16, v227
	;; [unrolled: 1-line block ×3, first 2 shown]
	v_pk_fma_f32 v[16:17], v[16:17], v[22:23], v[206:207] op_sel_hi:[0,1,0]
	v_or3_b32 v14, v14, v213, v229
	v_add_f32_e32 v11, v11, v17
	v_or3_b32 v14, v14, v227, v228
	v_mov_b32_e32 v15, 0
	v_ashrrev_i32_e32 v18, v194, v21
	v_add_f32_e32 v11, v16, v11
	v_dot4c_i32_i8_e32 v15, v14, v30
	v_cvt_f32_f16_e32 v16, v20
	v_cvt_f32_f16_sdwa v17, v20 dst_sel:DWORD dst_unused:UNUSED_PAD src0_sel:WORD_1
	v_lshrrev_b32_e32 v14, 4, v205
	v_lshlrev_b32_e32 v19, 4, v18
	v_lshlrev_b32_e32 v20, 11, v18
	;; [unrolled: 1-line block ×4, first 2 shown]
	v_and_b32_e32 v14, 0xf0f0f0f, v14
	v_and_b32_e32 v21, 0x100000, v21
	;; [unrolled: 1-line block ×5, first 2 shown]
	v_or3_b32 v14, v18, v14, v21
	v_or3_b32 v14, v14, v19, v20
	v_mov_b32_e32 v18, 0
	v_dot4c_i32_i8_e32 v18, v14, v31
	v_cvt_f32_i32_e32 v15, v15
	v_mul_f32_e32 v17, v5, v17
	v_mul_f32_e32 v16, v4, v16
	v_cvt_f32_i32_e32 v14, v18
	v_mul_f32_e32 v18, 0x3e000000, v17
	v_pk_fma_f32 v[14:15], v[16:17], v[14:15], v[18:19] op_sel_hi:[0,1,0]
	v_add_f32_e32 v11, v11, v15
	s_waitcnt vmcnt(0)
	v_ashrrev_i32_e32 v15, v24, v13
	v_lshlrev_b32_e32 v16, 4, v15
	v_lshlrev_b32_e32 v17, 11, v15
	;; [unrolled: 1-line block ×4, first 2 shown]
	v_add_f32_e32 v11, v14, v11
	v_and_b32_e32 v14, 0xf0f0f0f, v208
	v_and_b32_e32 v18, 0x100000, v18
	;; [unrolled: 1-line block ×5, first 2 shown]
	v_or3_b32 v14, v15, v14, v18
	v_or3_b32 v14, v14, v16, v17
	v_mov_b32_e32 v15, 0
	v_ashrrev_i32_e32 v13, v194, v13
	v_dot4c_i32_i8_e32 v15, v14, v32
	v_cvt_f32_f16_e32 v14, v12
	v_cvt_f32_f16_sdwa v16, v12 dst_sel:DWORD dst_unused:UNUSED_PAD src0_sel:WORD_1
	v_lshrrev_b32_e32 v12, 4, v208
	v_lshlrev_b32_e32 v17, 4, v13
	v_lshlrev_b32_e32 v18, 11, v13
	;; [unrolled: 1-line block ×4, first 2 shown]
	v_and_b32_e32 v12, 0xf0f0f0f, v12
	v_and_b32_e32 v19, 0x100000, v19
	;; [unrolled: 1-line block ×5, first 2 shown]
	v_or3_b32 v12, v13, v12, v19
	v_or3_b32 v12, v12, v17, v18
	v_mov_b32_e32 v17, 0
	v_dot4c_i32_i8_e32 v17, v12, v33
	v_cvt_f32_i32_e32 v13, v15
	v_mul_f32_e32 v15, v7, v16
	v_mul_f32_e32 v14, v6, v14
	v_cvt_f32_i32_e32 v12, v17
	v_mul_f32_e32 v16, 0x3e000000, v15
	v_pk_fma_f32 v[12:13], v[14:15], v[12:13], v[16:17] op_sel_hi:[0,1,0]
	v_add_f32_e32 v11, v11, v13
	v_add_f32_e32 v11, v12, v11
	ds_bpermute_b32 v12, v188, v11
	s_waitcnt lgkmcnt(0)
	v_add_f32_e32 v11, v11, v12
	ds_bpermute_b32 v12, v189, v11
	s_waitcnt lgkmcnt(0)
	v_add_f32_e32 v11, v11, v12
	v_cmp_nlt_f32_e64 s[18:19], |v11|, s20
                                        ; implicit-def: $vgpr12
	s_and_saveexec_b64 s[54:55], s[18:19]
	s_xor_b64 s[18:19], exec, s[54:55]
	s_cbranch_execz .LBB18_19
; %bb.18:                               ;   in Loop: Header=BB18_11 Depth=1
	v_add_f32_e64 v12, |v11|, |v11|
	v_mul_f32_e32 v13, 0x3fb8aa3b, v12
	v_rndne_f32_e32 v14, v13
	v_sub_f32_e32 v15, v13, v14
	v_fma_f32 v13, v12, s21, -v13
	v_fmac_f32_e32 v13, 0x32a5705f, v12
	v_add_f32_e32 v13, v15, v13
	v_cvt_i32_f32_e32 v14, v14
	v_exp_f32_e32 v13, v13
	v_cmp_ngt_f32_e32 vcc, s43, v12
	v_ldexp_f32 v13, v13, v14
	s_nop 0
	v_cndmask_b32_e32 v13, 0, v13, vcc
	v_cmp_nlt_f32_e32 vcc, s44, v12
	s_nop 1
	v_cndmask_b32_e32 v12, v201, v13, vcc
	v_add_f32_e32 v12, 1.0, v12
	v_rcp_f32_e32 v12, v12
	s_nop 0
	v_fma_f32 v12, v12, -2.0, 1.0
.LBB18_19:                              ;   in Loop: Header=BB18_11 Depth=1
	s_andn2_saveexec_b64 s[18:19], s[18:19]
; %bb.20:                               ;   in Loop: Header=BB18_11 Depth=1
	v_mul_f32_e32 v12, v11, v11
	v_fmamk_f32 v13, v12, 0xbbbac73d, v200
	v_fmaak_f32 v13, v12, v13, 0xbd5c1c4e
	v_fmaak_f32 v13, v12, v13, 0x3e088382
	;; [unrolled: 1-line block ×3, first 2 shown]
	v_mul_f32_e64 v13, |v11|, v13
	v_fma_f32 v12, v12, v13, |v11|
; %bb.21:                               ;   in Loop: Header=BB18_11 Depth=1
	s_or_b64 exec, exec, s[18:19]
	v_bfi_b32 v11, s49, v12, v11
	s_and_b64 vcc, exec, s[12:13]
	v_mul_f32_e32 v11, s45, v11
	s_cbranch_vccnz .LBB18_23
; %bb.22:                               ;   in Loop: Header=BB18_11 Depth=1
	global_load_ushort v12, v[36:37], off offset:-4
	s_waitcnt vmcnt(0)
	v_fma_mix_f32 v11, v184, v12, v11 op_sel_hi:[0,1,0]
.LBB18_23:                              ;   in Loop: Header=BB18_11 Depth=1
	v_lshl_add_u64 v[14:15], v[46:47], 0, s[22:23]
	v_lshl_add_u64 v[12:13], v[60:61], 0, s[22:23]
	global_load_dword v22, v[14:15], off offset:8
	global_load_dwordx2 v[16:17], v[12:13], off
	global_load_dword v23, v[14:15], off offset:32
	global_load_dwordx2 v[18:19], v[12:13], off offset:24
	global_load_dword v205, v[14:15], off offset:56
	global_load_dwordx2 v[20:21], v[12:13], off offset:48
	global_load_dword v209, v[14:15], off offset:80
	s_nop 0
	global_load_dwordx2 v[12:13], v[12:13], off offset:72
	v_mov_b32_e32 v204, 0
	v_mov_b32_e32 v206, 0
	;; [unrolled: 1-line block ×4, first 2 shown]
	s_waitcnt vmcnt(7)
	v_and_b32_e32 v14, 0xf0f0f0f, v22
	s_waitcnt vmcnt(6)
	v_ashrrev_i32_e32 v15, v24, v17
	v_ashrrev_i32_e32 v17, v194, v17
	v_lshrrev_b32_e32 v22, 4, v22
	s_waitcnt vmcnt(4)
	v_ashrrev_i32_e32 v212, v24, v19
	v_cvt_f32_f16_e32 v213, v18
	v_cvt_f32_f16_sdwa v18, v18 dst_sel:DWORD dst_unused:UNUSED_PAD src0_sel:WORD_1
	v_ashrrev_i32_e32 v19, v194, v19
	v_lshlrev_b32_e32 v216, 4, v15
	v_lshlrev_b32_e32 v217, 11, v15
	;; [unrolled: 1-line block ×8, first 2 shown]
	v_and_b32_e32 v211, 0xf0f0f0f, v23
	v_lshrrev_b32_e32 v23, 4, v23
	v_and_b32_e32 v22, 0xf0f0f0f, v22
	v_lshlrev_b32_e32 v225, 4, v19
	v_lshlrev_b32_e32 v226, 11, v19
	;; [unrolled: 1-line block ×4, first 2 shown]
	v_and_b32_e32 v218, 0x100000, v218
	v_and_b32_e32 v15, 0x10000000, v15
	;; [unrolled: 1-line block ×4, first 2 shown]
	v_lshlrev_b32_e32 v222, 4, v212
	v_lshlrev_b32_e32 v223, 11, v212
	;; [unrolled: 1-line block ×4, first 2 shown]
	v_and_b32_e32 v23, 0xf0f0f0f, v23
	v_and_b32_e32 v216, 16, v216
	;; [unrolled: 1-line block ×7, first 2 shown]
	v_or3_b32 v14, v15, v14, v218
	v_or3_b32 v15, v17, v22, v221
	v_cvt_f32_f16_e32 v210, v16
	v_cvt_f32_f16_sdwa v16, v16 dst_sel:DWORD dst_unused:UNUSED_PAD src0_sel:WORD_1
	v_and_b32_e32 v224, 0x100000, v224
	v_and_b32_e32 v212, 0x10000000, v212
	;; [unrolled: 1-line block ×4, first 2 shown]
	v_or3_b32 v19, v19, v23, v227
	v_or3_b32 v22, v14, v216, v217
	;; [unrolled: 1-line block ×3, first 2 shown]
	v_and_b32_e32 v222, 16, v222
	v_and_b32_e32 v223, 0x1000, v223
	v_or3_b32 v17, v212, v211, v224
	v_mul_f32_e32 v211, v3, v18
	v_or3_b32 v18, v19, v225, v226
	v_dot4c_i32_i8_e32 v204, v22, v26
	v_dot4c_i32_i8_e32 v206, v15, v27
	v_or3_b32 v17, v17, v222, v223
	v_dot4c_i32_i8_e32 v208, v18, v29
	v_cvt_f32_i32_e32 v19, v204
	v_cvt_f32_i32_e32 v18, v206
	v_dot4c_i32_i8_e32 v207, v17, v28
	v_mul_f32_e32 v14, v0, v210
	v_mul_f32_e32 v210, v1, v16
	v_cvt_f32_i32_e32 v22, v208
	v_cvt_f32_i32_e32 v23, v207
	v_mul_f32_e32 v204, 0x3e000000, v210
	s_waitcnt vmcnt(3)
	v_pk_fma_f32 v[14:15], v[14:15], v[18:19], v[204:205] op_sel_hi:[0,1,0]
	v_mul_f32_e32 v16, v2, v213
	v_mul_f32_e32 v206, 0x3e000000, v211
	v_add_f32_e32 v15, 0, v15
	v_pk_fma_f32 v[16:17], v[16:17], v[22:23], v[206:207] op_sel_hi:[0,1,0]
	v_add_f32_e32 v14, v14, v15
	s_waitcnt vmcnt(2)
	v_ashrrev_i32_e32 v215, v24, v21
	v_add_f32_e32 v14, v14, v17
	v_lshlrev_b32_e32 v230, 18, v215
	v_add_f32_e32 v17, v16, v14
	v_lshlrev_b32_e32 v14, 25, v215
	v_and_b32_e32 v214, 0xf0f0f0f, v205
	v_lshlrev_b32_e32 v228, 4, v215
	v_lshlrev_b32_e32 v229, 11, v215
	v_and_b32_e32 v230, 0x100000, v230
	v_and_b32_e32 v14, 0x10000000, v14
	;; [unrolled: 1-line block ×4, first 2 shown]
	v_or3_b32 v14, v14, v214, v230
	v_or3_b32 v14, v14, v228, v229
	v_mov_b32_e32 v15, 0
	v_ashrrev_i32_e32 v19, v194, v21
	v_dot4c_i32_i8_e32 v15, v14, v30
	v_cvt_f32_f16_e32 v16, v20
	v_cvt_f32_f16_sdwa v18, v20 dst_sel:DWORD dst_unused:UNUSED_PAD src0_sel:WORD_1
	v_lshrrev_b32_e32 v14, 4, v205
	v_lshlrev_b32_e32 v20, 4, v19
	v_lshlrev_b32_e32 v21, 11, v19
	;; [unrolled: 1-line block ×4, first 2 shown]
	v_and_b32_e32 v14, 0xf0f0f0f, v14
	v_and_b32_e32 v22, 0x100000, v22
	;; [unrolled: 1-line block ×5, first 2 shown]
	v_or3_b32 v14, v19, v14, v22
	v_or3_b32 v14, v14, v20, v21
	v_mov_b32_e32 v19, 0
	v_dot4c_i32_i8_e32 v19, v14, v31
	v_cvt_f32_i32_e32 v15, v15
	v_mul_f32_e32 v18, v5, v18
	v_mul_f32_e32 v16, v4, v16
	v_cvt_f32_i32_e32 v14, v19
	v_mul_f32_e32 v18, 0x3e000000, v18
	v_pk_fma_f32 v[14:15], v[16:17], v[14:15], v[18:19] op_sel_hi:[0,1,0]
	s_waitcnt vmcnt(0)
	v_ashrrev_i32_e32 v16, v24, v13
	v_add_f32_e32 v15, v17, v15
	v_lshlrev_b32_e32 v17, 4, v16
	v_lshlrev_b32_e32 v18, 11, v16
	;; [unrolled: 1-line block ×4, first 2 shown]
	v_add_f32_e32 v15, v14, v15
	v_and_b32_e32 v14, 0xf0f0f0f, v209
	v_and_b32_e32 v19, 0x100000, v19
	;; [unrolled: 1-line block ×5, first 2 shown]
	v_or3_b32 v14, v16, v14, v19
	v_or3_b32 v14, v14, v17, v18
	v_mov_b32_e32 v16, 0
	v_ashrrev_i32_e32 v13, v194, v13
	v_dot4c_i32_i8_e32 v16, v14, v32
	v_cvt_f32_f16_e32 v14, v12
	v_cvt_f32_f16_sdwa v17, v12 dst_sel:DWORD dst_unused:UNUSED_PAD src0_sel:WORD_1
	v_lshrrev_b32_e32 v12, 4, v209
	v_lshlrev_b32_e32 v18, 4, v13
	v_lshlrev_b32_e32 v19, 11, v13
	;; [unrolled: 1-line block ×4, first 2 shown]
	v_and_b32_e32 v12, 0xf0f0f0f, v12
	v_and_b32_e32 v20, 0x100000, v20
	;; [unrolled: 1-line block ×5, first 2 shown]
	v_or3_b32 v12, v13, v12, v20
	v_or3_b32 v12, v12, v18, v19
	v_mov_b32_e32 v18, 0
	v_dot4c_i32_i8_e32 v18, v12, v33
	v_cvt_f32_i32_e32 v13, v16
	v_mul_f32_e32 v16, v7, v17
	v_mul_f32_e32 v14, v6, v14
	v_cvt_f32_i32_e32 v12, v18
	v_mul_f32_e32 v16, 0x3e000000, v16
	v_pk_fma_f32 v[12:13], v[14:15], v[12:13], v[16:17] op_sel_hi:[0,1,0]
	v_add_f32_e32 v13, v15, v13
	v_add_f32_e32 v12, v12, v13
	ds_bpermute_b32 v13, v188, v12
	s_waitcnt lgkmcnt(0)
	v_add_f32_e32 v12, v12, v13
	ds_bpermute_b32 v13, v189, v12
	s_waitcnt lgkmcnt(0)
	v_add_f32_e32 v12, v12, v13
	v_cmp_nlt_f32_e64 s[18:19], |v12|, s20
                                        ; implicit-def: $vgpr13
	s_and_saveexec_b64 s[54:55], s[18:19]
	s_xor_b64 s[18:19], exec, s[54:55]
	s_cbranch_execz .LBB18_25
; %bb.24:                               ;   in Loop: Header=BB18_11 Depth=1
	v_add_f32_e64 v13, |v12|, |v12|
	v_mul_f32_e32 v14, 0x3fb8aa3b, v13
	v_rndne_f32_e32 v15, v14
	v_sub_f32_e32 v16, v14, v15
	v_fma_f32 v14, v13, s21, -v14
	v_fmac_f32_e32 v14, 0x32a5705f, v13
	v_add_f32_e32 v14, v16, v14
	v_cvt_i32_f32_e32 v15, v15
	v_exp_f32_e32 v14, v14
	v_cmp_ngt_f32_e32 vcc, s43, v13
	v_ldexp_f32 v14, v14, v15
	s_nop 0
	v_cndmask_b32_e32 v14, 0, v14, vcc
	v_cmp_nlt_f32_e32 vcc, s44, v13
	s_nop 1
	v_cndmask_b32_e32 v13, v201, v14, vcc
	v_add_f32_e32 v13, 1.0, v13
	v_rcp_f32_e32 v13, v13
	s_nop 0
	v_fma_f32 v13, v13, -2.0, 1.0
.LBB18_25:                              ;   in Loop: Header=BB18_11 Depth=1
	s_andn2_saveexec_b64 s[18:19], s[18:19]
; %bb.26:                               ;   in Loop: Header=BB18_11 Depth=1
	v_mul_f32_e32 v13, v12, v12
	v_fmamk_f32 v14, v13, 0xbbbac73d, v200
	v_fmaak_f32 v14, v13, v14, 0xbd5c1c4e
	v_fmaak_f32 v14, v13, v14, 0x3e088382
	;; [unrolled: 1-line block ×3, first 2 shown]
	v_mul_f32_e64 v14, |v12|, v14
	v_fma_f32 v13, v13, v14, |v12|
; %bb.27:                               ;   in Loop: Header=BB18_11 Depth=1
	s_or_b64 exec, exec, s[18:19]
	v_bfi_b32 v12, s49, v13, v12
	s_and_b64 vcc, exec, s[12:13]
	v_mul_f32_e32 v12, s45, v12
	s_cbranch_vccnz .LBB18_29
; %bb.28:                               ;   in Loop: Header=BB18_11 Depth=1
	global_load_ushort v13, v[36:37], off offset:-2
	s_waitcnt vmcnt(0)
	v_fma_mix_f32 v12, v184, v13, v12 op_sel_hi:[0,1,0]
.LBB18_29:                              ;   in Loop: Header=BB18_11 Depth=1
	v_lshl_add_u64 v[16:17], v[34:35], 0, s[22:23]
	v_lshl_add_u64 v[14:15], v[42:43], 0, s[22:23]
	global_load_dword v13, v[16:17], off offset:8
	global_load_dwordx2 v[18:19], v[14:15], off
	global_load_dword v204, v[16:17], off offset:32
	global_load_dwordx2 v[20:21], v[14:15], off offset:24
	global_load_dword v207, v[16:17], off offset:56
	global_load_dwordx2 v[22:23], v[14:15], off offset:48
	global_load_dword v210, v[16:17], off offset:80
	s_nop 0
	global_load_dwordx2 v[14:15], v[14:15], off offset:72
	v_mov_b32_e32 v205, 0
	v_mov_b32_e32 v206, 0
	v_mov_b32_e32 v208, 0
	v_mov_b32_e32 v209, 0
	s_waitcnt vmcnt(7)
	v_and_b32_e32 v16, 0xf0f0f0f, v13
	s_waitcnt vmcnt(6)
	v_ashrrev_i32_e32 v17, v24, v19
	v_ashrrev_i32_e32 v19, v194, v19
	v_lshrrev_b32_e32 v13, 4, v13
	s_waitcnt vmcnt(4)
	v_ashrrev_i32_e32 v213, v24, v21
	v_ashrrev_i32_e32 v21, v194, v21
	v_lshlrev_b32_e32 v217, 4, v17
	v_lshlrev_b32_e32 v218, 11, v17
	;; [unrolled: 1-line block ×8, first 2 shown]
	v_and_b32_e32 v212, 0xf0f0f0f, v204
	v_cvt_f32_f16_e32 v214, v20
	v_cvt_f32_f16_sdwa v20, v20 dst_sel:DWORD dst_unused:UNUSED_PAD src0_sel:WORD_1
	v_lshrrev_b32_e32 v204, 4, v204
	v_and_b32_e32 v13, 0xf0f0f0f, v13
	v_lshlrev_b32_e32 v226, 4, v21
	v_lshlrev_b32_e32 v227, 11, v21
	;; [unrolled: 1-line block ×4, first 2 shown]
	v_and_b32_e32 v219, 0x100000, v219
	v_and_b32_e32 v17, 0x10000000, v17
	;; [unrolled: 1-line block ×11, first 2 shown]
	v_or3_b32 v16, v17, v16, v219
	v_or3_b32 v13, v19, v13, v222
	v_cvt_f32_f16_e32 v211, v18
	v_cvt_f32_f16_sdwa v18, v18 dst_sel:DWORD dst_unused:UNUSED_PAD src0_sel:WORD_1
	v_lshlrev_b32_e32 v223, 4, v213
	v_lshlrev_b32_e32 v224, 11, v213
	;; [unrolled: 1-line block ×4, first 2 shown]
	v_or3_b32 v19, v21, v204, v228
	v_or3_b32 v21, v16, v217, v218
	;; [unrolled: 1-line block ×3, first 2 shown]
	v_and_b32_e32 v225, 0x100000, v225
	v_and_b32_e32 v213, 0x10000000, v213
	v_dot4c_i32_i8_e32 v205, v21, v26
	v_dot4c_i32_i8_e32 v206, v13, v27
	v_or3_b32 v17, v213, v212, v225
	v_mul_f32_e32 v212, v3, v20
	v_cvt_f32_i32_e32 v21, v205
	v_cvt_f32_i32_e32 v20, v206
	v_and_b32_e32 v223, 16, v223
	v_and_b32_e32 v224, 0x1000, v224
	;; [unrolled: 1-line block ×4, first 2 shown]
	v_mul_f32_e32 v16, v0, v211
	v_mul_f32_e32 v211, v1, v18
	v_or3_b32 v17, v17, v223, v224
	v_or3_b32 v19, v19, v226, v227
	v_dot4c_i32_i8_e32 v208, v17, v28
	v_dot4c_i32_i8_e32 v209, v19, v29
	v_mul_f32_e32 v206, 0x3e000000, v211
	s_waitcnt vmcnt(3)
	v_pk_fma_f32 v[16:17], v[16:17], v[20:21], v[206:207] op_sel_hi:[0,1,0]
	v_cvt_f32_i32_e32 v205, v208
	v_cvt_f32_i32_e32 v204, v209
	s_waitcnt vmcnt(2)
	v_ashrrev_i32_e32 v216, v24, v23
	v_add_f32_e32 v13, 0, v17
	v_lshlrev_b32_e32 v231, 18, v216
	v_add_f32_e32 v13, v16, v13
	v_lshlrev_b32_e32 v16, 25, v216
	v_and_b32_e32 v215, 0xf0f0f0f, v207
	v_lshlrev_b32_e32 v229, 4, v216
	v_lshlrev_b32_e32 v230, 11, v216
	v_and_b32_e32 v231, 0x100000, v231
	v_mul_f32_e32 v18, v2, v214
	v_mul_f32_e32 v208, 0x3e000000, v212
	v_and_b32_e32 v16, 0x10000000, v16
	v_and_b32_e32 v229, 16, v229
	;; [unrolled: 1-line block ×3, first 2 shown]
	v_pk_fma_f32 v[18:19], v[18:19], v[204:205], v[208:209] op_sel_hi:[0,1,0]
	v_or3_b32 v16, v16, v215, v231
	v_add_f32_e32 v13, v13, v19
	v_or3_b32 v16, v16, v229, v230
	v_mov_b32_e32 v17, 0
	v_ashrrev_i32_e32 v20, v194, v23
	v_add_f32_e32 v13, v18, v13
	v_dot4c_i32_i8_e32 v17, v16, v30
	v_cvt_f32_f16_e32 v18, v22
	v_cvt_f32_f16_sdwa v19, v22 dst_sel:DWORD dst_unused:UNUSED_PAD src0_sel:WORD_1
	v_lshrrev_b32_e32 v16, 4, v207
	v_lshlrev_b32_e32 v21, 4, v20
	v_lshlrev_b32_e32 v22, 11, v20
	;; [unrolled: 1-line block ×4, first 2 shown]
	v_and_b32_e32 v16, 0xf0f0f0f, v16
	v_and_b32_e32 v23, 0x100000, v23
	;; [unrolled: 1-line block ×5, first 2 shown]
	v_or3_b32 v16, v20, v16, v23
	v_or3_b32 v16, v16, v21, v22
	v_mov_b32_e32 v20, 0
	v_dot4c_i32_i8_e32 v20, v16, v31
	v_cvt_f32_i32_e32 v17, v17
	v_mul_f32_e32 v19, v5, v19
	v_mul_f32_e32 v18, v4, v18
	v_cvt_f32_i32_e32 v16, v20
	v_mul_f32_e32 v20, 0x3e000000, v19
	v_pk_fma_f32 v[16:17], v[18:19], v[16:17], v[20:21] op_sel_hi:[0,1,0]
	v_add_f32_e32 v13, v13, v17
	s_waitcnt vmcnt(0)
	v_ashrrev_i32_e32 v17, v24, v15
	v_lshlrev_b32_e32 v18, 4, v17
	v_lshlrev_b32_e32 v19, 11, v17
	;; [unrolled: 1-line block ×4, first 2 shown]
	v_add_f32_e32 v13, v16, v13
	v_and_b32_e32 v16, 0xf0f0f0f, v210
	v_and_b32_e32 v20, 0x100000, v20
	;; [unrolled: 1-line block ×5, first 2 shown]
	v_or3_b32 v16, v17, v16, v20
	v_or3_b32 v16, v16, v18, v19
	v_mov_b32_e32 v17, 0
	v_ashrrev_i32_e32 v15, v194, v15
	v_dot4c_i32_i8_e32 v17, v16, v32
	v_cvt_f32_f16_e32 v16, v14
	v_cvt_f32_f16_sdwa v18, v14 dst_sel:DWORD dst_unused:UNUSED_PAD src0_sel:WORD_1
	v_lshrrev_b32_e32 v14, 4, v210
	v_lshlrev_b32_e32 v19, 4, v15
	v_lshlrev_b32_e32 v20, 11, v15
	;; [unrolled: 1-line block ×4, first 2 shown]
	v_and_b32_e32 v14, 0xf0f0f0f, v14
	v_and_b32_e32 v21, 0x100000, v21
	;; [unrolled: 1-line block ×5, first 2 shown]
	v_or3_b32 v14, v15, v14, v21
	v_or3_b32 v14, v14, v19, v20
	v_mov_b32_e32 v19, 0
	v_dot4c_i32_i8_e32 v19, v14, v33
	v_cvt_f32_i32_e32 v15, v17
	v_mul_f32_e32 v17, v7, v18
	v_mul_f32_e32 v16, v6, v16
	v_cvt_f32_i32_e32 v14, v19
	v_mul_f32_e32 v18, 0x3e000000, v17
	v_pk_fma_f32 v[14:15], v[16:17], v[14:15], v[18:19] op_sel_hi:[0,1,0]
	v_add_f32_e32 v13, v13, v15
	v_add_f32_e32 v13, v14, v13
	ds_bpermute_b32 v14, v188, v13
	s_waitcnt lgkmcnt(0)
	v_add_f32_e32 v13, v13, v14
	ds_bpermute_b32 v14, v189, v13
	s_waitcnt lgkmcnt(0)
	v_add_f32_e32 v13, v13, v14
	v_cmp_nlt_f32_e64 s[18:19], |v13|, s20
                                        ; implicit-def: $vgpr14
	s_and_saveexec_b64 s[54:55], s[18:19]
	s_xor_b64 s[18:19], exec, s[54:55]
	s_cbranch_execz .LBB18_31
; %bb.30:                               ;   in Loop: Header=BB18_11 Depth=1
	v_add_f32_e64 v14, |v13|, |v13|
	v_mul_f32_e32 v15, 0x3fb8aa3b, v14
	v_rndne_f32_e32 v16, v15
	v_sub_f32_e32 v17, v15, v16
	v_fma_f32 v15, v14, s21, -v15
	v_fmac_f32_e32 v15, 0x32a5705f, v14
	v_add_f32_e32 v15, v17, v15
	v_cvt_i32_f32_e32 v16, v16
	v_exp_f32_e32 v15, v15
	v_cmp_ngt_f32_e32 vcc, s43, v14
	v_ldexp_f32 v15, v15, v16
	s_nop 0
	v_cndmask_b32_e32 v15, 0, v15, vcc
	v_cmp_nlt_f32_e32 vcc, s44, v14
	s_nop 1
	v_cndmask_b32_e32 v14, v201, v15, vcc
	v_add_f32_e32 v14, 1.0, v14
	v_rcp_f32_e32 v14, v14
	s_nop 0
	v_fma_f32 v14, v14, -2.0, 1.0
.LBB18_31:                              ;   in Loop: Header=BB18_11 Depth=1
	s_andn2_saveexec_b64 s[18:19], s[18:19]
; %bb.32:                               ;   in Loop: Header=BB18_11 Depth=1
	v_mul_f32_e32 v14, v13, v13
	v_fmamk_f32 v15, v14, 0xbbbac73d, v200
	v_fmaak_f32 v15, v14, v15, 0xbd5c1c4e
	v_fmaak_f32 v15, v14, v15, 0x3e088382
	;; [unrolled: 1-line block ×3, first 2 shown]
	v_mul_f32_e64 v15, |v13|, v15
	v_fma_f32 v14, v14, v15, |v13|
; %bb.33:                               ;   in Loop: Header=BB18_11 Depth=1
	s_or_b64 exec, exec, s[18:19]
	v_bfi_b32 v13, s49, v14, v13
	s_and_b64 vcc, exec, s[12:13]
	v_mul_f32_e32 v13, s45, v13
	s_cbranch_vccnz .LBB18_35
; %bb.34:                               ;   in Loop: Header=BB18_11 Depth=1
	global_load_ushort v14, v[36:37], off
	s_waitcnt vmcnt(0)
	v_fma_mix_f32 v13, v184, v14, v13 op_sel_hi:[0,1,0]
.LBB18_35:                              ;   in Loop: Header=BB18_11 Depth=1
	v_lshl_add_u64 v[16:17], v[40:41], 0, s[26:27]
	v_lshl_add_u64 v[14:15], v[38:39], 0, s[26:27]
	global_load_dword v205, v[16:17], off
	global_load_dwordx2 v[206:207], v[14:15], off offset:-4
	v_add_f32_e32 v14, 0x40051340, v10
	v_add_f32_e32 v15, 0x40051340, v11
	;; [unrolled: 1-line block ×4, first 2 shown]
	v_max3_f32 v14, v9, v14, v15
	v_max3_f32 v14, v14, v16, v17
	ds_bpermute_b32 v15, v190, v14
	v_lshl_add_u64 v[16:17], v[48:49], 0, s[26:27]
	v_cndmask_b32_e64 v10, v203, v10, s[6:7]
	v_cndmask_b32_e64 v10, v10, v11, s[8:9]
	;; [unrolled: 1-line block ×3, first 2 shown]
	s_waitcnt lgkmcnt(0)
	v_max_f32_e32 v15, v15, v15
	v_max_f32_e32 v20, v14, v15
	v_lshl_add_u64 v[14:15], v[44:45], 0, s[26:27]
	global_load_dword v212, v[16:17], off
	global_load_dwordx2 v[208:209], v[14:15], off
	ds_bpermute_b32 v21, v191, v20
	v_cndmask_b32_e64 v10, v10, v13, s[4:5]
	v_lshl_add_u64 v[18:19], v[50:51], 0, s[26:27]
	global_load_dwordx2 v[210:211], v[18:19], off
	s_add_i32 s16, s16, s48
	s_waitcnt lgkmcnt(0)
	v_max_f32_e32 v11, v21, v21
	v_max_f32_e32 v11, v20, v11
	ds_bpermute_b32 v20, v192, v11
	v_lshl_add_u64 v[34:35], v[34:35], 0, s[50:51]
	v_lshl_add_u64 v[36:37], v[36:37], 0, s[36:37]
	;; [unrolled: 1-line block ×4, first 2 shown]
	s_waitcnt lgkmcnt(0)
	v_max_f32_e32 v12, v20, v20
	v_max_f32_e32 v204, v11, v12
	v_sub_f32_e32 v9, v9, v204
	v_sub_f32_e32 v12, v10, v204
	v_mul_f32_e32 v10, 0x3fb8aa3b, v9
	v_mul_f32_e32 v11, 0x3fb8aa3b, v12
	v_fma_f32 v13, v9, s21, -v10
	v_rndne_f32_e32 v14, v10
	v_fma_f32 v15, v12, s21, -v11
	v_rndne_f32_e32 v16, v11
	v_fmac_f32_e32 v13, 0x32a5705f, v9
	v_sub_f32_e32 v10, v10, v14
	v_fmac_f32_e32 v15, 0x32a5705f, v12
	v_sub_f32_e32 v11, v11, v16
	v_add_f32_e32 v10, v10, v13
	v_cvt_i32_f32_e32 v14, v14
	v_add_f32_e32 v11, v11, v15
	v_exp_f32_e32 v13, v10
	v_cvt_i32_f32_e32 v16, v16
	v_exp_f32_e32 v15, v11
	v_lshl_add_u64 v[10:11], v[52:53], 0, s[26:27]
	global_load_dword v213, v[10:11], off
	v_ldexp_f32 v10, v13, v14
	v_cmp_ngt_f32_e32 vcc, s43, v9
	v_ldexp_f32 v11, v15, v16
	v_lshl_add_u64 v[42:43], v[42:43], 0, s[50:51]
	v_cndmask_b32_e32 v10, 0, v10, vcc
	v_cmp_ngt_f32_e32 vcc, s43, v12
	v_lshl_add_u64 v[44:45], v[44:45], 0, s[38:39]
	v_lshl_add_u64 v[46:47], v[46:47], 0, s[50:51]
	v_cndmask_b32_e32 v11, 0, v11, vcc
	v_cmp_nlt_f32_e32 vcc, s44, v9
	v_lshl_add_u64 v[48:49], v[48:49], 0, s[38:39]
	v_lshl_add_u64 v[50:51], v[50:51], 0, s[38:39]
	v_cndmask_b32_e32 v9, v201, v10, vcc
	v_cmp_nlt_f32_e32 vcc, s44, v12
	v_cvt_f16_f32_e32 v10, v9
	v_lshl_add_u64 v[52:53], v[52:53], 0, s[38:39]
	v_cndmask_b32_e32 v203, v201, v11, vcc
	v_cvt_f16_f32_e32 v11, v203
	v_fma_f32 v187, v187, v9, v203
	v_mul_u32_u24_e32 v9, 0x10001, v10
	v_pk_mul_f16 v214, v8, v9
	ds_write_b16 v185, v11
	ds_read_b128 v[20:23], v193
	v_pk_mul_f16 v25, v25, v9
	ds_read_b128 v[16:19], v193 offset:16
	ds_read_b128 v[12:15], v193 offset:32
	;; [unrolled: 1-line block ×3, first 2 shown]
	v_lshl_add_u64 v[60:61], v[60:61], 0, s[50:51]
	v_lshl_add_u64 v[64:65], v[64:65], 0, s[50:51]
	s_waitcnt lgkmcnt(3)
	v_mul_u32_u24_sdwa v215, v20, s52 dst_sel:DWORD dst_unused:UNUSED_PAD src0_sel:WORD_0 src1_sel:DWORD
	v_mul_u32_u24_sdwa v20, v20, s52 dst_sel:DWORD dst_unused:UNUSED_PAD src0_sel:WORD_1 src1_sel:DWORD
	s_waitcnt vmcnt(5)
	v_ashrrev_i32_e32 v205, v196, v205
	s_waitcnt vmcnt(4)
	v_lshrrev_b32_e32 v216, v195, v207
	v_lshrrev_b32_e32 v217, v197, v207
	;; [unrolled: 1-line block ×4, first 2 shown]
	v_and_b32_e32 v205, 0xf0f0f0f, v205
	v_lshlrev_b32_e32 v216, 4, v216
	v_lshlrev_b32_e32 v217, 12, v217
	;; [unrolled: 1-line block ×4, first 2 shown]
	v_and_or_b32 v205, v216, 16, v205
	v_and_b32_e32 v216, 0x100000, v218
	v_and_b32_e32 v207, 0x10000000, v207
	v_and_or_b32 v217, v217, s17, v205
	v_or3_b32 v207, v216, v207, v217
	v_lshrrev_b32_e32 v216, 8, v217
	v_and_b32_e32 v205, 31, v205
	v_and_b32_e32 v216, 31, v216
	v_mul_u32_u24_sdwa v217, v206, s52 dst_sel:DWORD dst_unused:UNUSED_PAD src0_sel:WORD_0 src1_sel:DWORD
	v_mul_u32_u24_sdwa v218, v206, s52 dst_sel:DWORD dst_unused:UNUSED_PAD src0_sel:WORD_1 src1_sel:DWORD
	v_cvt_f16_u16_e32 v205, v205
	v_cvt_f16_u16_e32 v206, v216
	v_pack_b32_f16 v205, v205, v206
	v_and_b32_sdwa v206, v207, v202 dst_sel:DWORD dst_unused:UNUSED_PAD src0_sel:WORD_1 src1_sel:DWORD
	v_cvt_f16_u16_sdwa v216, v207 dst_sel:DWORD dst_unused:UNUSED_PAD src0_sel:BYTE_3
	v_cvt_f16_u16_e32 v219, v206
	v_lshl_add_u64 v[206:207], v[56:57], 0, s[26:27]
	global_load_dword v220, v[206:207], off
	v_lshl_add_u64 v[206:207], v[54:55], 0, s[26:27]
	global_load_dwordx2 v[206:207], v[206:207], off
	v_pk_fma_f16 v205, v205, v217, v218
	v_pack_b32_f16 v216, v219, v216
	v_pk_fma_f16 v205, v205, v215, v214
	s_waitcnt vmcnt(5)
	v_ashrrev_i32_e32 v212, v196, v212
	s_waitcnt vmcnt(4)
	v_lshrrev_b32_e32 v214, v195, v209
	v_pk_fma_f16 v216, v216, v217, v218
	v_and_b32_e32 v212, 0xf0f0f0f, v212
	v_lshlrev_b32_e32 v214, 4, v214
	v_pk_fma_f16 v25, v216, v215, v25
	v_and_or_b32 v212, v214, 16, v212
	v_lshrrev_b32_e32 v214, v197, v209
	v_lshrrev_b32_e32 v215, v198, v209
	;; [unrolled: 1-line block ×3, first 2 shown]
	v_lshlrev_b32_e32 v214, 12, v214
	v_lshlrev_b32_e32 v215, 20, v215
	;; [unrolled: 1-line block ×3, first 2 shown]
	v_and_or_b32 v214, v214, s17, v212
	v_and_b32_e32 v215, 0x100000, v215
	v_and_b32_e32 v209, 0x10000000, v209
	v_or3_b32 v209, v215, v209, v214
	v_lshrrev_b32_e32 v214, 8, v214
	v_and_b32_e32 v212, 31, v212
	v_and_b32_e32 v214, 31, v214
	v_mul_u32_u24_sdwa v215, v208, s52 dst_sel:DWORD dst_unused:UNUSED_PAD src0_sel:WORD_0 src1_sel:DWORD
	v_mul_u32_u24_sdwa v216, v208, s52 dst_sel:DWORD dst_unused:UNUSED_PAD src0_sel:WORD_1 src1_sel:DWORD
	v_cvt_f16_u16_e32 v208, v212
	v_cvt_f16_u16_e32 v212, v214
	v_pack_b32_f16 v208, v208, v212
	v_pk_fma_f16 v212, v208, v215, v216
	v_and_b32_sdwa v208, v209, v202 dst_sel:DWORD dst_unused:UNUSED_PAD src0_sel:WORD_1 src1_sel:DWORD
	v_cvt_f16_u16_sdwa v214, v209 dst_sel:DWORD dst_unused:UNUSED_PAD src0_sel:BYTE_3
	v_cvt_f16_u16_e32 v217, v208
	v_lshl_add_u64 v[208:209], v[62:63], 0, s[26:27]
	global_load_dword v218, v[208:209], off
	v_lshl_add_u64 v[208:209], v[58:59], 0, s[26:27]
	global_load_dwordx2 v[208:209], v[208:209], off
	v_pack_b32_f16 v214, v217, v214
	v_pk_fma_f16 v205, v212, v20, v205
	s_waitcnt vmcnt(4)
	v_ashrrev_i32_e32 v212, v196, v213
	v_lshrrev_b32_e32 v213, v195, v211
	v_pk_fma_f16 v214, v214, v215, v216
	v_and_b32_e32 v212, 0xf0f0f0f, v212
	v_lshlrev_b32_e32 v213, 4, v213
	v_pk_fma_f16 v20, v214, v20, v25
	v_and_or_b32 v212, v213, 16, v212
	v_lshrrev_b32_e32 v213, v197, v211
	v_lshrrev_b32_e32 v214, v198, v211
	;; [unrolled: 1-line block ×3, first 2 shown]
	v_lshlrev_b32_e32 v213, 12, v213
	v_lshlrev_b32_e32 v214, 20, v214
	;; [unrolled: 1-line block ×3, first 2 shown]
	v_and_or_b32 v213, v213, s17, v212
	v_and_b32_e32 v214, 0x100000, v214
	v_and_b32_e32 v211, 0x10000000, v211
	v_or3_b32 v211, v214, v211, v213
	v_lshrrev_b32_e32 v213, 8, v213
	v_and_b32_e32 v212, 31, v212
	v_and_b32_e32 v213, 31, v213
	v_mul_u32_u24_sdwa v214, v210, s52 dst_sel:DWORD dst_unused:UNUSED_PAD src0_sel:WORD_0 src1_sel:DWORD
	v_mul_u32_u24_sdwa v215, v210, s52 dst_sel:DWORD dst_unused:UNUSED_PAD src0_sel:WORD_1 src1_sel:DWORD
	v_cvt_f16_u16_e32 v210, v212
	v_cvt_f16_u16_e32 v212, v213
	v_pack_b32_f16 v210, v210, v212
	v_pk_fma_f16 v212, v210, v214, v215
	v_and_b32_sdwa v210, v211, v202 dst_sel:DWORD dst_unused:UNUSED_PAD src0_sel:WORD_1 src1_sel:DWORD
	v_cvt_f16_u16_sdwa v213, v211 dst_sel:DWORD dst_unused:UNUSED_PAD src0_sel:BYTE_3
	v_cvt_f16_u16_e32 v216, v210
	v_lshl_add_u64 v[210:211], v[68:69], 0, s[26:27]
	global_load_dword v217, v[210:211], off
	v_lshl_add_u64 v[210:211], v[66:67], 0, s[26:27]
	global_load_dwordx2 v[210:211], v[210:211], off
	v_pack_b32_f16 v213, v216, v213
	v_mul_u32_u24_sdwa v25, v21, s52 dst_sel:DWORD dst_unused:UNUSED_PAD src0_sel:WORD_0 src1_sel:DWORD
	v_pk_fma_f16 v213, v213, v214, v215
	v_pk_fma_f16 v205, v212, v25, v205
	;; [unrolled: 1-line block ×3, first 2 shown]
	v_mul_u32_u24_sdwa v212, v21, s52 dst_sel:DWORD dst_unused:UNUSED_PAD src0_sel:WORD_1 src1_sel:DWORD
	s_waitcnt vmcnt(5)
	v_ashrrev_i32_e32 v20, v196, v220
	v_and_b32_e32 v20, 0xf0f0f0f, v20
	s_waitcnt vmcnt(4)
	v_lshrrev_b32_e32 v21, v195, v207
	v_lshlrev_b32_e32 v21, 4, v21
	v_and_or_b32 v20, v21, 16, v20
	v_lshrrev_b32_e32 v21, v197, v207
	v_lshrrev_b32_e32 v213, v198, v207
	;; [unrolled: 1-line block ×3, first 2 shown]
	v_lshlrev_b32_e32 v21, 12, v21
	v_lshlrev_b32_e32 v213, 20, v213
	;; [unrolled: 1-line block ×3, first 2 shown]
	v_and_or_b32 v21, v21, s17, v20
	v_and_b32_e32 v213, 0x100000, v213
	v_and_b32_e32 v207, 0x10000000, v207
	v_or3_b32 v207, v213, v207, v21
	v_lshrrev_b32_e32 v21, 8, v21
	v_and_b32_e32 v20, 31, v20
	v_and_b32_e32 v21, 31, v21
	v_cvt_f16_u16_e32 v20, v20
	v_cvt_f16_u16_e32 v21, v21
	v_mul_u32_u24_sdwa v213, v206, s52 dst_sel:DWORD dst_unused:UNUSED_PAD src0_sel:WORD_0 src1_sel:DWORD
	v_mul_u32_u24_sdwa v206, v206, s52 dst_sel:DWORD dst_unused:UNUSED_PAD src0_sel:WORD_1 src1_sel:DWORD
	v_pack_b32_f16 v20, v20, v21
	v_pk_fma_f16 v214, v20, v213, v206
	v_and_b32_sdwa v20, v207, v202 dst_sel:DWORD dst_unused:UNUSED_PAD src0_sel:WORD_1 src1_sel:DWORD
	v_cvt_f16_u16_e32 v215, v20
	v_lshl_add_u64 v[20:21], v[72:73], 0, s[26:27]
	v_cvt_f16_u16_sdwa v207, v207 dst_sel:DWORD dst_unused:UNUSED_PAD src0_sel:BYTE_3
	global_load_dword v216, v[20:21], off
	v_lshl_add_u64 v[20:21], v[70:71], 0, s[26:27]
	global_load_dwordx2 v[20:21], v[20:21], off
	v_pack_b32_f16 v207, v215, v207
	v_pk_fma_f16 v206, v207, v213, v206
	v_pk_fma_f16 v205, v214, v212, v205
	;; [unrolled: 1-line block ×3, first 2 shown]
	v_mul_u32_u24_sdwa v212, v22, s52 dst_sel:DWORD dst_unused:UNUSED_PAD src0_sel:WORD_0 src1_sel:DWORD
	s_waitcnt vmcnt(5)
	v_ashrrev_i32_e32 v206, v196, v218
	v_and_b32_e32 v206, 0xf0f0f0f, v206
	s_waitcnt vmcnt(4)
	v_lshrrev_b32_e32 v207, v195, v209
	v_lshlrev_b32_e32 v207, 4, v207
	v_and_or_b32 v206, v207, 16, v206
	v_lshrrev_b32_e32 v207, v197, v209
	v_lshrrev_b32_e32 v213, v198, v209
	v_lshrrev_b32_e32 v209, v199, v209
	v_lshlrev_b32_e32 v207, 12, v207
	v_lshlrev_b32_e32 v213, 20, v213
	;; [unrolled: 1-line block ×3, first 2 shown]
	v_and_or_b32 v207, v207, s17, v206
	v_and_b32_e32 v213, 0x100000, v213
	v_and_b32_e32 v209, 0x10000000, v209
	v_or3_b32 v209, v213, v209, v207
	v_lshrrev_b32_e32 v207, 8, v207
	v_and_b32_e32 v206, 31, v206
	v_and_b32_e32 v207, 31, v207
	v_cvt_f16_u16_e32 v206, v206
	v_cvt_f16_u16_e32 v207, v207
	v_mul_u32_u24_sdwa v213, v208, s52 dst_sel:DWORD dst_unused:UNUSED_PAD src0_sel:WORD_0 src1_sel:DWORD
	v_mul_u32_u24_sdwa v208, v208, s52 dst_sel:DWORD dst_unused:UNUSED_PAD src0_sel:WORD_1 src1_sel:DWORD
	v_pack_b32_f16 v206, v206, v207
	v_pk_fma_f16 v214, v206, v213, v208
	v_and_b32_sdwa v206, v209, v202 dst_sel:DWORD dst_unused:UNUSED_PAD src0_sel:WORD_1 src1_sel:DWORD
	v_cvt_f16_u16_e32 v215, v206
	v_lshl_add_u64 v[206:207], v[76:77], 0, s[26:27]
	global_load_dword v218, v[206:207], off
	v_lshl_add_u64 v[206:207], v[74:75], 0, s[26:27]
	global_load_dwordx2 v[206:207], v[206:207], off
	v_cvt_f16_u16_sdwa v209, v209 dst_sel:DWORD dst_unused:UNUSED_PAD src0_sel:BYTE_3
	v_pack_b32_f16 v209, v215, v209
	v_pk_fma_f16 v208, v209, v213, v208
	v_pk_fma_f16 v205, v214, v212, v205
	;; [unrolled: 1-line block ×3, first 2 shown]
	s_waitcnt vmcnt(5)
	v_ashrrev_i32_e32 v208, v196, v217
	v_and_b32_e32 v208, 0xf0f0f0f, v208
	s_waitcnt vmcnt(4)
	v_lshrrev_b32_e32 v209, v195, v211
	v_lshlrev_b32_e32 v209, 4, v209
	v_and_or_b32 v208, v209, 16, v208
	v_lshrrev_b32_e32 v209, v197, v211
	v_lshrrev_b32_e32 v212, v198, v211
	v_lshrrev_b32_e32 v211, v199, v211
	v_lshlrev_b32_e32 v209, 12, v209
	v_lshlrev_b32_e32 v212, 20, v212
	;; [unrolled: 1-line block ×3, first 2 shown]
	v_and_or_b32 v209, v209, s17, v208
	v_and_b32_e32 v212, 0x100000, v212
	v_and_b32_e32 v211, 0x10000000, v211
	v_or3_b32 v211, v212, v211, v209
	v_lshrrev_b32_e32 v209, 8, v209
	v_and_b32_e32 v208, 31, v208
	v_and_b32_e32 v209, 31, v209
	v_cvt_f16_u16_e32 v208, v208
	v_cvt_f16_u16_e32 v209, v209
	v_mul_u32_u24_sdwa v212, v210, s52 dst_sel:DWORD dst_unused:UNUSED_PAD src0_sel:WORD_0 src1_sel:DWORD
	v_mul_u32_u24_sdwa v210, v210, s52 dst_sel:DWORD dst_unused:UNUSED_PAD src0_sel:WORD_1 src1_sel:DWORD
	v_pack_b32_f16 v208, v208, v209
	v_pk_fma_f16 v213, v208, v212, v210
	v_and_b32_sdwa v208, v211, v202 dst_sel:DWORD dst_unused:UNUSED_PAD src0_sel:WORD_1 src1_sel:DWORD
	v_cvt_f16_u16_e32 v214, v208
	v_lshl_add_u64 v[208:209], v[84:85], 0, s[26:27]
	v_cvt_f16_u16_sdwa v211, v211 dst_sel:DWORD dst_unused:UNUSED_PAD src0_sel:BYTE_3
	global_load_dword v215, v[208:209], off
	v_lshl_add_u64 v[208:209], v[80:81], 0, s[26:27]
	global_load_dwordx2 v[208:209], v[208:209], off
	v_pack_b32_f16 v211, v214, v211
	v_mul_u32_u24_sdwa v22, v22, s52 dst_sel:DWORD dst_unused:UNUSED_PAD src0_sel:WORD_1 src1_sel:DWORD
	v_pk_fma_f16 v210, v211, v212, v210
	v_pk_fma_f16 v205, v213, v22, v205
	;; [unrolled: 1-line block ×3, first 2 shown]
	v_mul_u32_u24_sdwa v25, v23, s52 dst_sel:DWORD dst_unused:UNUSED_PAD src0_sel:WORD_0 src1_sel:DWORD
	s_waitcnt vmcnt(5)
	v_ashrrev_i32_e32 v210, v196, v216
	v_and_b32_e32 v210, 0xf0f0f0f, v210
	s_waitcnt vmcnt(4)
	v_lshrrev_b32_e32 v211, v195, v21
	v_lshlrev_b32_e32 v211, 4, v211
	v_and_or_b32 v210, v211, 16, v210
	v_lshrrev_b32_e32 v211, v197, v21
	v_lshrrev_b32_e32 v212, v198, v21
	;; [unrolled: 1-line block ×3, first 2 shown]
	v_lshlrev_b32_e32 v211, 12, v211
	v_lshlrev_b32_e32 v212, 20, v212
	;; [unrolled: 1-line block ×3, first 2 shown]
	v_and_or_b32 v211, v211, s17, v210
	v_and_b32_e32 v212, 0x100000, v212
	v_and_b32_e32 v21, 0x10000000, v21
	v_or3_b32 v21, v212, v21, v211
	v_lshrrev_b32_e32 v211, 8, v211
	v_and_b32_e32 v210, 31, v210
	v_and_b32_e32 v211, 31, v211
	v_mul_u32_u24_sdwa v212, v20, s52 dst_sel:DWORD dst_unused:UNUSED_PAD src0_sel:WORD_0 src1_sel:DWORD
	v_mul_u32_u24_sdwa v213, v20, s52 dst_sel:DWORD dst_unused:UNUSED_PAD src0_sel:WORD_1 src1_sel:DWORD
	v_cvt_f16_u16_e32 v20, v210
	v_cvt_f16_u16_e32 v210, v211
	v_pack_b32_f16 v20, v20, v210
	v_pk_fma_f16 v210, v20, v212, v213
	v_and_b32_sdwa v20, v21, v202 dst_sel:DWORD dst_unused:UNUSED_PAD src0_sel:WORD_1 src1_sel:DWORD
	v_cvt_f16_u16_sdwa v211, v21 dst_sel:DWORD dst_unused:UNUSED_PAD src0_sel:BYTE_3
	v_cvt_f16_u16_e32 v214, v20
	v_lshl_add_u64 v[20:21], v[88:89], 0, s[26:27]
	global_load_dword v216, v[20:21], off
	v_lshl_add_u64 v[20:21], v[86:87], 0, s[26:27]
	global_load_dwordx2 v[20:21], v[20:21], off
	v_pack_b32_f16 v211, v214, v211
	v_pk_fma_f16 v211, v211, v212, v213
	v_pk_fma_f16 v205, v210, v25, v205
	;; [unrolled: 1-line block ×3, first 2 shown]
	v_mul_u32_u24_sdwa v210, v23, s52 dst_sel:DWORD dst_unused:UNUSED_PAD src0_sel:WORD_1 src1_sel:DWORD
	s_waitcnt vmcnt(5)
	v_ashrrev_i32_e32 v22, v196, v218
	s_waitcnt vmcnt(4)
	v_lshrrev_b32_e32 v23, v195, v207
	v_and_b32_e32 v22, 0xf0f0f0f, v22
	v_lshlrev_b32_e32 v23, 4, v23
	v_and_or_b32 v22, v23, 16, v22
	v_lshrrev_b32_e32 v23, v197, v207
	v_lshrrev_b32_e32 v211, v198, v207
	;; [unrolled: 1-line block ×3, first 2 shown]
	v_lshlrev_b32_e32 v23, 12, v23
	v_lshlrev_b32_e32 v211, 20, v211
	;; [unrolled: 1-line block ×3, first 2 shown]
	v_and_or_b32 v23, v23, s17, v22
	v_and_b32_e32 v211, 0x100000, v211
	v_and_b32_e32 v207, 0x10000000, v207
	v_or3_b32 v207, v211, v207, v23
	v_lshrrev_b32_e32 v23, 8, v23
	v_and_b32_e32 v22, 31, v22
	v_and_b32_e32 v23, 31, v23
	v_cvt_f16_u16_e32 v22, v22
	v_cvt_f16_u16_e32 v23, v23
	v_mul_u32_u24_sdwa v211, v206, s52 dst_sel:DWORD dst_unused:UNUSED_PAD src0_sel:WORD_0 src1_sel:DWORD
	v_mul_u32_u24_sdwa v206, v206, s52 dst_sel:DWORD dst_unused:UNUSED_PAD src0_sel:WORD_1 src1_sel:DWORD
	v_pack_b32_f16 v22, v22, v23
	v_pk_fma_f16 v212, v22, v211, v206
	v_and_b32_sdwa v22, v207, v202 dst_sel:DWORD dst_unused:UNUSED_PAD src0_sel:WORD_1 src1_sel:DWORD
	v_cvt_f16_u16_e32 v213, v22
	v_lshl_add_u64 v[22:23], v[92:93], 0, s[26:27]
	global_load_dword v214, v[22:23], off
	v_lshl_add_u64 v[22:23], v[90:91], 0, s[26:27]
	global_load_dwordx2 v[22:23], v[22:23], off
	v_cvt_f16_u16_sdwa v207, v207 dst_sel:DWORD dst_unused:UNUSED_PAD src0_sel:BYTE_3
	v_pack_b32_f16 v207, v213, v207
	v_pk_fma_f16 v206, v207, v211, v206
	v_pk_fma_f16 v205, v212, v210, v205
	;; [unrolled: 1-line block ×3, first 2 shown]
	s_waitcnt vmcnt(5)
	v_ashrrev_i32_e32 v206, v196, v215
	v_and_b32_e32 v206, 0xf0f0f0f, v206
	s_waitcnt vmcnt(4)
	v_lshrrev_b32_e32 v207, v195, v209
	v_lshlrev_b32_e32 v207, 4, v207
	v_and_or_b32 v206, v207, 16, v206
	v_lshrrev_b32_e32 v207, v197, v209
	v_lshrrev_b32_e32 v211, v198, v209
	;; [unrolled: 1-line block ×3, first 2 shown]
	v_lshlrev_b32_e32 v207, 12, v207
	v_lshlrev_b32_e32 v211, 20, v211
	;; [unrolled: 1-line block ×3, first 2 shown]
	v_and_or_b32 v207, v207, s17, v206
	v_and_b32_e32 v211, 0x100000, v211
	v_and_b32_e32 v209, 0x10000000, v209
	v_or3_b32 v209, v211, v209, v207
	v_lshrrev_b32_e32 v207, 8, v207
	v_and_b32_e32 v206, 31, v206
	v_and_b32_e32 v207, 31, v207
	v_cvt_f16_u16_e32 v206, v206
	v_cvt_f16_u16_e32 v207, v207
	v_mul_u32_u24_sdwa v211, v208, s52 dst_sel:DWORD dst_unused:UNUSED_PAD src0_sel:WORD_0 src1_sel:DWORD
	v_mul_u32_u24_sdwa v208, v208, s52 dst_sel:DWORD dst_unused:UNUSED_PAD src0_sel:WORD_1 src1_sel:DWORD
	v_pack_b32_f16 v206, v206, v207
	v_pk_fma_f16 v212, v206, v211, v208
	v_and_b32_sdwa v206, v209, v202 dst_sel:DWORD dst_unused:UNUSED_PAD src0_sel:WORD_1 src1_sel:DWORD
	v_cvt_f16_u16_e32 v213, v206
	v_lshl_add_u64 v[206:207], v[98:99], 0, s[26:27]
	v_cvt_f16_u16_sdwa v209, v209 dst_sel:DWORD dst_unused:UNUSED_PAD src0_sel:BYTE_3
	global_load_dword v215, v[206:207], off
	v_lshl_add_u64 v[206:207], v[94:95], 0, s[26:27]
	global_load_dwordx2 v[206:207], v[206:207], off
	v_pack_b32_f16 v209, v213, v209
	s_waitcnt lgkmcnt(2)
	v_mul_u32_u24_sdwa v210, v16, s52 dst_sel:DWORD dst_unused:UNUSED_PAD src0_sel:WORD_0 src1_sel:DWORD
	v_pk_fma_f16 v208, v209, v211, v208
	v_pk_fma_f16 v205, v212, v210, v205
	;; [unrolled: 1-line block ×3, first 2 shown]
	v_mul_u32_u24_sdwa v16, v16, s52 dst_sel:DWORD dst_unused:UNUSED_PAD src0_sel:WORD_1 src1_sel:DWORD
	s_waitcnt vmcnt(5)
	v_ashrrev_i32_e32 v208, v196, v216
	v_and_b32_e32 v208, 0xf0f0f0f, v208
	s_waitcnt vmcnt(4)
	v_lshrrev_b32_e32 v209, v195, v21
	v_lshlrev_b32_e32 v209, 4, v209
	v_and_or_b32 v208, v209, 16, v208
	v_lshrrev_b32_e32 v209, v197, v21
	v_lshrrev_b32_e32 v210, v198, v21
	;; [unrolled: 1-line block ×3, first 2 shown]
	v_lshlrev_b32_e32 v209, 12, v209
	v_lshlrev_b32_e32 v210, 20, v210
	;; [unrolled: 1-line block ×3, first 2 shown]
	v_and_or_b32 v209, v209, s17, v208
	v_and_b32_e32 v210, 0x100000, v210
	v_and_b32_e32 v21, 0x10000000, v21
	v_or3_b32 v21, v210, v21, v209
	v_lshrrev_b32_e32 v209, 8, v209
	v_and_b32_e32 v208, 31, v208
	v_and_b32_e32 v209, 31, v209
	v_mul_u32_u24_sdwa v210, v20, s52 dst_sel:DWORD dst_unused:UNUSED_PAD src0_sel:WORD_0 src1_sel:DWORD
	v_mul_u32_u24_sdwa v211, v20, s52 dst_sel:DWORD dst_unused:UNUSED_PAD src0_sel:WORD_1 src1_sel:DWORD
	v_cvt_f16_u16_e32 v20, v208
	v_cvt_f16_u16_e32 v208, v209
	v_pack_b32_f16 v20, v20, v208
	v_pk_fma_f16 v208, v20, v210, v211
	v_and_b32_sdwa v20, v21, v202 dst_sel:DWORD dst_unused:UNUSED_PAD src0_sel:WORD_1 src1_sel:DWORD
	v_cvt_f16_u16_sdwa v209, v21 dst_sel:DWORD dst_unused:UNUSED_PAD src0_sel:BYTE_3
	v_cvt_f16_u16_e32 v212, v20
	v_lshl_add_u64 v[20:21], v[108:109], 0, s[26:27]
	global_load_dword v213, v[20:21], off
	v_lshl_add_u64 v[20:21], v[102:103], 0, s[26:27]
	global_load_dwordx2 v[20:21], v[20:21], off
	v_pack_b32_f16 v209, v212, v209
	v_pk_fma_f16 v209, v209, v210, v211
	v_pk_fma_f16 v205, v208, v16, v205
	;; [unrolled: 1-line block ×3, first 2 shown]
	s_waitcnt vmcnt(5)
	v_ashrrev_i32_e32 v208, v196, v214
	v_and_b32_e32 v208, 0xf0f0f0f, v208
	s_waitcnt vmcnt(4)
	v_lshrrev_b32_e32 v209, v195, v23
	v_lshlrev_b32_e32 v209, 4, v209
	v_and_or_b32 v208, v209, 16, v208
	v_lshrrev_b32_e32 v209, v197, v23
	v_lshrrev_b32_e32 v210, v198, v23
	;; [unrolled: 1-line block ×3, first 2 shown]
	v_lshlrev_b32_e32 v209, 12, v209
	v_lshlrev_b32_e32 v210, 20, v210
	;; [unrolled: 1-line block ×3, first 2 shown]
	v_and_or_b32 v209, v209, s17, v208
	v_and_b32_e32 v210, 0x100000, v210
	v_and_b32_e32 v23, 0x10000000, v23
	v_or3_b32 v23, v210, v23, v209
	v_lshrrev_b32_e32 v209, 8, v209
	v_and_b32_e32 v208, 31, v208
	v_and_b32_e32 v209, 31, v209
	v_mul_u32_u24_sdwa v210, v22, s52 dst_sel:DWORD dst_unused:UNUSED_PAD src0_sel:WORD_0 src1_sel:DWORD
	v_mul_u32_u24_sdwa v211, v22, s52 dst_sel:DWORD dst_unused:UNUSED_PAD src0_sel:WORD_1 src1_sel:DWORD
	v_cvt_f16_u16_e32 v22, v208
	v_cvt_f16_u16_e32 v208, v209
	v_pack_b32_f16 v22, v22, v208
	v_pk_fma_f16 v208, v22, v210, v211
	v_and_b32_sdwa v22, v23, v202 dst_sel:DWORD dst_unused:UNUSED_PAD src0_sel:WORD_1 src1_sel:DWORD
	v_cvt_f16_u16_sdwa v209, v23 dst_sel:DWORD dst_unused:UNUSED_PAD src0_sel:BYTE_3
	v_cvt_f16_u16_e32 v212, v22
	v_lshl_add_u64 v[22:23], v[120:121], 0, s[26:27]
	global_load_dword v214, v[22:23], off
	v_lshl_add_u64 v[22:23], v[114:115], 0, s[26:27]
	global_load_dwordx2 v[22:23], v[22:23], off
	v_pack_b32_f16 v209, v212, v209
	v_mul_u32_u24_sdwa v25, v17, s52 dst_sel:DWORD dst_unused:UNUSED_PAD src0_sel:WORD_0 src1_sel:DWORD
	v_pk_fma_f16 v209, v209, v210, v211
	v_pk_fma_f16 v205, v208, v25, v205
	;; [unrolled: 1-line block ×3, first 2 shown]
	v_mul_u32_u24_sdwa v208, v17, s52 dst_sel:DWORD dst_unused:UNUSED_PAD src0_sel:WORD_1 src1_sel:DWORD
	s_waitcnt vmcnt(5)
	v_ashrrev_i32_e32 v16, v196, v215
	s_waitcnt vmcnt(4)
	v_lshrrev_b32_e32 v17, v195, v207
	v_and_b32_e32 v16, 0xf0f0f0f, v16
	v_lshlrev_b32_e32 v17, 4, v17
	v_and_or_b32 v16, v17, 16, v16
	v_lshrrev_b32_e32 v17, v197, v207
	v_lshrrev_b32_e32 v209, v198, v207
	;; [unrolled: 1-line block ×3, first 2 shown]
	v_lshlrev_b32_e32 v17, 12, v17
	v_lshlrev_b32_e32 v209, 20, v209
	;; [unrolled: 1-line block ×3, first 2 shown]
	v_and_or_b32 v17, v17, s17, v16
	v_and_b32_e32 v209, 0x100000, v209
	v_and_b32_e32 v207, 0x10000000, v207
	v_or3_b32 v207, v209, v207, v17
	v_lshrrev_b32_e32 v17, 8, v17
	v_and_b32_e32 v16, 31, v16
	v_and_b32_e32 v17, 31, v17
	v_cvt_f16_u16_e32 v16, v16
	v_cvt_f16_u16_e32 v17, v17
	v_mul_u32_u24_sdwa v209, v206, s52 dst_sel:DWORD dst_unused:UNUSED_PAD src0_sel:WORD_0 src1_sel:DWORD
	v_mul_u32_u24_sdwa v206, v206, s52 dst_sel:DWORD dst_unused:UNUSED_PAD src0_sel:WORD_1 src1_sel:DWORD
	v_pack_b32_f16 v16, v16, v17
	v_pk_fma_f16 v210, v16, v209, v206
	v_and_b32_sdwa v16, v207, v202 dst_sel:DWORD dst_unused:UNUSED_PAD src0_sel:WORD_1 src1_sel:DWORD
	v_cvt_f16_u16_e32 v211, v16
	v_lshl_add_u64 v[16:17], v[132:133], 0, s[26:27]
	v_cvt_f16_u16_sdwa v207, v207 dst_sel:DWORD dst_unused:UNUSED_PAD src0_sel:BYTE_3
	global_load_dword v212, v[16:17], off
	v_lshl_add_u64 v[16:17], v[126:127], 0, s[26:27]
	global_load_dwordx2 v[16:17], v[16:17], off
	v_pack_b32_f16 v207, v211, v207
	v_pk_fma_f16 v206, v207, v209, v206
	v_pk_fma_f16 v205, v210, v208, v205
	;; [unrolled: 1-line block ×3, first 2 shown]
	v_mul_u32_u24_sdwa v206, v18, s52 dst_sel:DWORD dst_unused:UNUSED_PAD src0_sel:WORD_0 src1_sel:DWORD
	s_waitcnt vmcnt(5)
	v_ashrrev_i32_e32 v207, v196, v213
	v_and_b32_e32 v207, 0xf0f0f0f, v207
	s_waitcnt vmcnt(4)
	v_lshrrev_b32_e32 v208, v195, v21
	v_lshlrev_b32_e32 v208, 4, v208
	v_and_or_b32 v207, v208, 16, v207
	v_lshrrev_b32_e32 v208, v197, v21
	v_lshrrev_b32_e32 v209, v198, v21
	;; [unrolled: 1-line block ×3, first 2 shown]
	v_lshlrev_b32_e32 v208, 12, v208
	v_lshlrev_b32_e32 v209, 20, v209
	v_lshlrev_b32_e32 v21, 28, v21
	v_and_or_b32 v208, v208, s17, v207
	v_and_b32_e32 v209, 0x100000, v209
	v_and_b32_e32 v21, 0x10000000, v21
	v_or3_b32 v21, v209, v21, v208
	v_lshrrev_b32_e32 v208, 8, v208
	v_and_b32_e32 v207, 31, v207
	v_and_b32_e32 v208, 31, v208
	v_mul_u32_u24_sdwa v209, v20, s52 dst_sel:DWORD dst_unused:UNUSED_PAD src0_sel:WORD_0 src1_sel:DWORD
	v_mul_u32_u24_sdwa v210, v20, s52 dst_sel:DWORD dst_unused:UNUSED_PAD src0_sel:WORD_1 src1_sel:DWORD
	v_cvt_f16_u16_e32 v20, v207
	v_cvt_f16_u16_e32 v207, v208
	v_pack_b32_f16 v20, v20, v207
	v_pk_fma_f16 v207, v20, v209, v210
	v_and_b32_sdwa v20, v21, v202 dst_sel:DWORD dst_unused:UNUSED_PAD src0_sel:WORD_1 src1_sel:DWORD
	v_cvt_f16_u16_sdwa v208, v21 dst_sel:DWORD dst_unused:UNUSED_PAD src0_sel:BYTE_3
	v_cvt_f16_u16_e32 v211, v20
	v_lshl_add_u64 v[20:21], v[144:145], 0, s[26:27]
	global_load_dword v213, v[20:21], off
	v_lshl_add_u64 v[20:21], v[138:139], 0, s[26:27]
	global_load_dwordx2 v[20:21], v[20:21], off
	v_pack_b32_f16 v208, v211, v208
	v_pk_fma_f16 v208, v208, v209, v210
	v_pk_fma_f16 v205, v207, v206, v205
	;; [unrolled: 1-line block ×3, first 2 shown]
	s_waitcnt vmcnt(5)
	v_ashrrev_i32_e32 v206, v196, v214
	v_and_b32_e32 v206, 0xf0f0f0f, v206
	s_waitcnt vmcnt(4)
	v_lshrrev_b32_e32 v207, v195, v23
	v_lshlrev_b32_e32 v207, 4, v207
	v_and_or_b32 v206, v207, 16, v206
	v_lshrrev_b32_e32 v207, v197, v23
	v_lshrrev_b32_e32 v208, v198, v23
	;; [unrolled: 1-line block ×3, first 2 shown]
	v_lshlrev_b32_e32 v207, 12, v207
	v_lshlrev_b32_e32 v208, 20, v208
	;; [unrolled: 1-line block ×3, first 2 shown]
	v_and_or_b32 v207, v207, s17, v206
	v_and_b32_e32 v208, 0x100000, v208
	v_and_b32_e32 v23, 0x10000000, v23
	v_or3_b32 v23, v208, v23, v207
	v_lshrrev_b32_e32 v207, 8, v207
	v_and_b32_e32 v206, 31, v206
	v_and_b32_e32 v207, 31, v207
	v_mul_u32_u24_sdwa v208, v22, s52 dst_sel:DWORD dst_unused:UNUSED_PAD src0_sel:WORD_0 src1_sel:DWORD
	v_mul_u32_u24_sdwa v209, v22, s52 dst_sel:DWORD dst_unused:UNUSED_PAD src0_sel:WORD_1 src1_sel:DWORD
	v_cvt_f16_u16_e32 v22, v206
	v_cvt_f16_u16_e32 v206, v207
	v_pack_b32_f16 v22, v22, v206
	v_pk_fma_f16 v206, v22, v208, v209
	v_and_b32_sdwa v22, v23, v202 dst_sel:DWORD dst_unused:UNUSED_PAD src0_sel:WORD_1 src1_sel:DWORD
	v_cvt_f16_u16_sdwa v207, v23 dst_sel:DWORD dst_unused:UNUSED_PAD src0_sel:BYTE_3
	v_cvt_f16_u16_e32 v210, v22
	v_lshl_add_u64 v[22:23], v[156:157], 0, s[26:27]
	global_load_dword v211, v[22:23], off
	v_lshl_add_u64 v[22:23], v[150:151], 0, s[26:27]
	global_load_dwordx2 v[22:23], v[22:23], off
	v_pack_b32_f16 v207, v210, v207
	v_mul_u32_u24_sdwa v18, v18, s52 dst_sel:DWORD dst_unused:UNUSED_PAD src0_sel:WORD_1 src1_sel:DWORD
	v_pk_fma_f16 v207, v207, v208, v209
	v_pk_fma_f16 v205, v206, v18, v205
	;; [unrolled: 1-line block ×3, first 2 shown]
	v_mul_u32_u24_sdwa v25, v19, s52 dst_sel:DWORD dst_unused:UNUSED_PAD src0_sel:WORD_0 src1_sel:DWORD
	s_waitcnt vmcnt(5)
	v_ashrrev_i32_e32 v206, v196, v212
	v_and_b32_e32 v206, 0xf0f0f0f, v206
	s_waitcnt vmcnt(4)
	v_lshrrev_b32_e32 v207, v195, v17
	v_lshlrev_b32_e32 v207, 4, v207
	v_and_or_b32 v206, v207, 16, v206
	v_lshrrev_b32_e32 v207, v197, v17
	v_lshrrev_b32_e32 v208, v198, v17
	;; [unrolled: 1-line block ×3, first 2 shown]
	v_lshlrev_b32_e32 v207, 12, v207
	v_lshlrev_b32_e32 v208, 20, v208
	v_lshlrev_b32_e32 v17, 28, v17
	v_and_or_b32 v207, v207, s17, v206
	v_and_b32_e32 v208, 0x100000, v208
	v_and_b32_e32 v17, 0x10000000, v17
	v_or3_b32 v17, v208, v17, v207
	v_lshrrev_b32_e32 v207, 8, v207
	v_and_b32_e32 v206, 31, v206
	v_and_b32_e32 v207, 31, v207
	v_mul_u32_u24_sdwa v208, v16, s52 dst_sel:DWORD dst_unused:UNUSED_PAD src0_sel:WORD_0 src1_sel:DWORD
	v_mul_u32_u24_sdwa v209, v16, s52 dst_sel:DWORD dst_unused:UNUSED_PAD src0_sel:WORD_1 src1_sel:DWORD
	v_cvt_f16_u16_e32 v16, v206
	v_cvt_f16_u16_e32 v206, v207
	v_pack_b32_f16 v16, v16, v206
	v_pk_fma_f16 v206, v16, v208, v209
	v_and_b32_sdwa v16, v17, v202 dst_sel:DWORD dst_unused:UNUSED_PAD src0_sel:WORD_1 src1_sel:DWORD
	v_cvt_f16_u16_sdwa v207, v17 dst_sel:DWORD dst_unused:UNUSED_PAD src0_sel:BYTE_3
	v_cvt_f16_u16_e32 v210, v16
	v_lshl_add_u64 v[16:17], v[168:169], 0, s[26:27]
	global_load_dword v212, v[16:17], off
	v_lshl_add_u64 v[16:17], v[162:163], 0, s[26:27]
	global_load_dwordx2 v[16:17], v[16:17], off
	v_pack_b32_f16 v207, v210, v207
	v_pk_fma_f16 v207, v207, v208, v209
	v_pk_fma_f16 v205, v206, v25, v205
	;; [unrolled: 1-line block ×3, first 2 shown]
	v_mul_u32_u24_sdwa v206, v19, s52 dst_sel:DWORD dst_unused:UNUSED_PAD src0_sel:WORD_1 src1_sel:DWORD
	s_waitcnt vmcnt(5)
	v_ashrrev_i32_e32 v18, v196, v213
	v_and_b32_e32 v18, 0xf0f0f0f, v18
	s_waitcnt vmcnt(4)
	v_lshrrev_b32_e32 v19, v195, v21
	v_lshlrev_b32_e32 v19, 4, v19
	v_and_or_b32 v18, v19, 16, v18
	v_lshrrev_b32_e32 v19, v197, v21
	v_lshrrev_b32_e32 v207, v198, v21
	;; [unrolled: 1-line block ×3, first 2 shown]
	v_lshlrev_b32_e32 v19, 12, v19
	v_lshlrev_b32_e32 v207, 20, v207
	;; [unrolled: 1-line block ×3, first 2 shown]
	v_and_or_b32 v19, v19, s17, v18
	v_and_b32_e32 v207, 0x100000, v207
	v_and_b32_e32 v21, 0x10000000, v21
	v_or3_b32 v21, v207, v21, v19
	v_lshrrev_b32_e32 v19, 8, v19
	v_and_b32_e32 v18, 31, v18
	v_and_b32_e32 v19, 31, v19
	v_cvt_f16_u16_e32 v18, v18
	v_cvt_f16_u16_e32 v19, v19
	v_mul_u32_u24_sdwa v207, v20, s52 dst_sel:DWORD dst_unused:UNUSED_PAD src0_sel:WORD_0 src1_sel:DWORD
	v_mul_u32_u24_sdwa v20, v20, s52 dst_sel:DWORD dst_unused:UNUSED_PAD src0_sel:WORD_1 src1_sel:DWORD
	v_pack_b32_f16 v18, v18, v19
	v_pk_fma_f16 v208, v18, v207, v20
	v_and_b32_sdwa v18, v21, v202 dst_sel:DWORD dst_unused:UNUSED_PAD src0_sel:WORD_1 src1_sel:DWORD
	v_cvt_f16_u16_e32 v209, v18
	v_lshl_add_u64 v[18:19], v[178:179], 0, s[26:27]
	v_cvt_f16_u16_sdwa v21, v21 dst_sel:DWORD dst_unused:UNUSED_PAD src0_sel:BYTE_3
	global_load_dword v210, v[18:19], off
	v_lshl_add_u64 v[18:19], v[174:175], 0, s[26:27]
	global_load_dwordx2 v[18:19], v[18:19], off
	v_pack_b32_f16 v21, v209, v21
	v_pk_fma_f16 v20, v21, v207, v20
	v_pk_fma_f16 v205, v208, v206, v205
	;; [unrolled: 1-line block ×3, first 2 shown]
	s_waitcnt vmcnt(5)
	v_ashrrev_i32_e32 v20, v196, v211
	v_and_b32_e32 v20, 0xf0f0f0f, v20
	s_waitcnt vmcnt(4)
	v_lshrrev_b32_e32 v21, v195, v23
	v_lshlrev_b32_e32 v21, 4, v21
	v_and_or_b32 v20, v21, 16, v20
	v_lshrrev_b32_e32 v21, v197, v23
	v_lshrrev_b32_e32 v207, v198, v23
	;; [unrolled: 1-line block ×3, first 2 shown]
	v_lshlrev_b32_e32 v21, 12, v21
	v_lshlrev_b32_e32 v207, 20, v207
	;; [unrolled: 1-line block ×3, first 2 shown]
	v_and_or_b32 v21, v21, s17, v20
	v_and_b32_e32 v207, 0x100000, v207
	v_and_b32_e32 v23, 0x10000000, v23
	v_or3_b32 v23, v207, v23, v21
	v_lshrrev_b32_e32 v21, 8, v21
	v_and_b32_e32 v20, 31, v20
	v_and_b32_e32 v21, 31, v21
	v_cvt_f16_u16_e32 v20, v20
	v_cvt_f16_u16_e32 v21, v21
	v_mul_u32_u24_sdwa v207, v22, s52 dst_sel:DWORD dst_unused:UNUSED_PAD src0_sel:WORD_0 src1_sel:DWORD
	v_mul_u32_u24_sdwa v22, v22, s52 dst_sel:DWORD dst_unused:UNUSED_PAD src0_sel:WORD_1 src1_sel:DWORD
	v_pack_b32_f16 v20, v20, v21
	v_pk_fma_f16 v208, v20, v207, v22
	v_and_b32_sdwa v20, v23, v202 dst_sel:DWORD dst_unused:UNUSED_PAD src0_sel:WORD_1 src1_sel:DWORD
	v_cvt_f16_u16_e32 v209, v20
	v_lshl_add_u64 v[20:21], v[172:173], 0, s[26:27]
	global_load_dword v211, v[20:21], off
	v_lshl_add_u64 v[20:21], v[176:177], 0, s[26:27]
	global_load_dwordx2 v[20:21], v[20:21], off offset:-4
	v_cvt_f16_u16_sdwa v23, v23 dst_sel:DWORD dst_unused:UNUSED_PAD src0_sel:BYTE_3
	v_pack_b32_f16 v23, v209, v23
	s_waitcnt lgkmcnt(1)
	v_mul_u32_u24_sdwa v206, v12, s52 dst_sel:DWORD dst_unused:UNUSED_PAD src0_sel:WORD_0 src1_sel:DWORD
	v_pk_fma_f16 v22, v23, v207, v22
	v_pk_fma_f16 v23, v208, v206, v205
	;; [unrolled: 1-line block ×3, first 2 shown]
	v_mul_u32_u24_sdwa v12, v12, s52 dst_sel:DWORD dst_unused:UNUSED_PAD src0_sel:WORD_1 src1_sel:DWORD
	s_waitcnt vmcnt(5)
	v_ashrrev_i32_e32 v25, v196, v212
	v_and_b32_e32 v25, 0xf0f0f0f, v25
	s_waitcnt vmcnt(4)
	v_lshrrev_b32_e32 v205, v195, v17
	v_lshlrev_b32_e32 v205, 4, v205
	v_and_or_b32 v25, v205, 16, v25
	v_lshrrev_b32_e32 v205, v197, v17
	v_lshrrev_b32_e32 v206, v198, v17
	;; [unrolled: 1-line block ×3, first 2 shown]
	v_lshlrev_b32_e32 v205, 12, v205
	v_lshlrev_b32_e32 v206, 20, v206
	;; [unrolled: 1-line block ×3, first 2 shown]
	v_and_or_b32 v205, v205, s17, v25
	v_and_b32_e32 v206, 0x100000, v206
	v_and_b32_e32 v17, 0x10000000, v17
	v_or3_b32 v17, v206, v17, v205
	v_lshrrev_b32_e32 v205, 8, v205
	v_and_b32_e32 v25, 31, v25
	v_and_b32_e32 v205, 31, v205
	v_mul_u32_u24_sdwa v206, v16, s52 dst_sel:DWORD dst_unused:UNUSED_PAD src0_sel:WORD_0 src1_sel:DWORD
	v_mul_u32_u24_sdwa v207, v16, s52 dst_sel:DWORD dst_unused:UNUSED_PAD src0_sel:WORD_1 src1_sel:DWORD
	v_cvt_f16_u16_e32 v16, v25
	v_cvt_f16_u16_e32 v25, v205
	v_pack_b32_f16 v16, v16, v25
	v_pk_fma_f16 v25, v16, v206, v207
	v_and_b32_sdwa v16, v17, v202 dst_sel:DWORD dst_unused:UNUSED_PAD src0_sel:WORD_1 src1_sel:DWORD
	v_cvt_f16_u16_sdwa v205, v17 dst_sel:DWORD dst_unused:UNUSED_PAD src0_sel:BYTE_3
	v_cvt_f16_u16_e32 v208, v16
	v_lshl_add_u64 v[16:17], v[166:167], 0, s[26:27]
	global_load_dword v209, v[16:17], off
	v_lshl_add_u64 v[16:17], v[170:171], 0, s[26:27]
	global_load_dwordx2 v[16:17], v[16:17], off offset:-4
	v_pack_b32_f16 v205, v208, v205
	v_pk_fma_f16 v205, v205, v206, v207
	v_pk_fma_f16 v23, v25, v12, v23
	;; [unrolled: 1-line block ×3, first 2 shown]
	v_mul_u32_u24_sdwa v22, v13, s52 dst_sel:DWORD dst_unused:UNUSED_PAD src0_sel:WORD_0 src1_sel:DWORD
	s_waitcnt vmcnt(5)
	v_ashrrev_i32_e32 v25, v196, v210
	v_and_b32_e32 v25, 0xf0f0f0f, v25
	s_waitcnt vmcnt(4)
	v_lshrrev_b32_e32 v205, v195, v19
	v_lshlrev_b32_e32 v205, 4, v205
	v_and_or_b32 v25, v205, 16, v25
	v_lshrrev_b32_e32 v205, v197, v19
	v_lshrrev_b32_e32 v206, v198, v19
	;; [unrolled: 1-line block ×3, first 2 shown]
	v_lshlrev_b32_e32 v205, 12, v205
	v_lshlrev_b32_e32 v206, 20, v206
	;; [unrolled: 1-line block ×3, first 2 shown]
	v_and_or_b32 v205, v205, s17, v25
	v_and_b32_e32 v206, 0x100000, v206
	v_and_b32_e32 v19, 0x10000000, v19
	v_or3_b32 v19, v206, v19, v205
	v_lshrrev_b32_e32 v205, 8, v205
	v_and_b32_e32 v25, 31, v25
	v_and_b32_e32 v205, 31, v205
	v_mul_u32_u24_sdwa v206, v18, s52 dst_sel:DWORD dst_unused:UNUSED_PAD src0_sel:WORD_0 src1_sel:DWORD
	v_mul_u32_u24_sdwa v207, v18, s52 dst_sel:DWORD dst_unused:UNUSED_PAD src0_sel:WORD_1 src1_sel:DWORD
	v_cvt_f16_u16_e32 v18, v25
	v_cvt_f16_u16_e32 v25, v205
	v_pack_b32_f16 v18, v18, v25
	v_pk_fma_f16 v25, v18, v206, v207
	v_and_b32_sdwa v18, v19, v202 dst_sel:DWORD dst_unused:UNUSED_PAD src0_sel:WORD_1 src1_sel:DWORD
	v_cvt_f16_u16_sdwa v205, v19 dst_sel:DWORD dst_unused:UNUSED_PAD src0_sel:BYTE_3
	v_cvt_f16_u16_e32 v208, v18
	v_lshl_add_u64 v[18:19], v[160:161], 0, s[26:27]
	global_load_dword v210, v[18:19], off
	v_lshl_add_u64 v[18:19], v[164:165], 0, s[26:27]
	global_load_dwordx2 v[18:19], v[18:19], off offset:-4
	v_pack_b32_f16 v205, v208, v205
	v_pk_fma_f16 v205, v205, v206, v207
	v_pk_fma_f16 v23, v25, v22, v23
	;; [unrolled: 1-line block ×3, first 2 shown]
	v_mul_u32_u24_sdwa v25, v13, s52 dst_sel:DWORD dst_unused:UNUSED_PAD src0_sel:WORD_1 src1_sel:DWORD
	s_waitcnt vmcnt(5)
	v_ashrrev_i32_e32 v12, v196, v211
	s_waitcnt vmcnt(4)
	v_lshrrev_b32_e32 v13, v195, v21
	v_and_b32_e32 v12, 0xf0f0f0f, v12
	v_lshlrev_b32_e32 v13, 4, v13
	v_and_or_b32 v12, v13, 16, v12
	v_lshrrev_b32_e32 v13, v197, v21
	v_lshrrev_b32_e32 v205, v198, v21
	;; [unrolled: 1-line block ×3, first 2 shown]
	v_lshlrev_b32_e32 v13, 12, v13
	v_lshlrev_b32_e32 v205, 20, v205
	;; [unrolled: 1-line block ×3, first 2 shown]
	v_and_or_b32 v13, v13, s17, v12
	v_and_b32_e32 v205, 0x100000, v205
	v_and_b32_e32 v21, 0x10000000, v21
	v_or3_b32 v21, v205, v21, v13
	v_lshrrev_b32_e32 v13, 8, v13
	v_and_b32_e32 v12, 31, v12
	v_and_b32_e32 v13, 31, v13
	v_cvt_f16_u16_e32 v12, v12
	v_cvt_f16_u16_e32 v13, v13
	v_mul_u32_u24_sdwa v205, v20, s52 dst_sel:DWORD dst_unused:UNUSED_PAD src0_sel:WORD_0 src1_sel:DWORD
	v_mul_u32_u24_sdwa v20, v20, s52 dst_sel:DWORD dst_unused:UNUSED_PAD src0_sel:WORD_1 src1_sel:DWORD
	v_pack_b32_f16 v12, v12, v13
	v_pk_fma_f16 v206, v12, v205, v20
	v_and_b32_sdwa v12, v21, v202 dst_sel:DWORD dst_unused:UNUSED_PAD src0_sel:WORD_1 src1_sel:DWORD
	v_cvt_f16_u16_e32 v207, v12
	v_lshl_add_u64 v[12:13], v[154:155], 0, s[26:27]
	global_load_dword v208, v[12:13], off
	v_lshl_add_u64 v[12:13], v[158:159], 0, s[26:27]
	global_load_dwordx2 v[12:13], v[12:13], off offset:-4
	v_cvt_f16_u16_sdwa v21, v21 dst_sel:DWORD dst_unused:UNUSED_PAD src0_sel:BYTE_3
	v_pack_b32_f16 v21, v207, v21
	v_pk_fma_f16 v20, v21, v205, v20
	v_pk_fma_f16 v21, v206, v25, v23
	;; [unrolled: 1-line block ×3, first 2 shown]
	v_mul_u32_u24_sdwa v22, v14, s52 dst_sel:DWORD dst_unused:UNUSED_PAD src0_sel:WORD_0 src1_sel:DWORD
	s_waitcnt vmcnt(5)
	v_ashrrev_i32_e32 v23, v196, v209
	v_and_b32_e32 v23, 0xf0f0f0f, v23
	s_waitcnt vmcnt(4)
	v_lshrrev_b32_e32 v25, v195, v17
	v_lshlrev_b32_e32 v25, 4, v25
	v_and_or_b32 v23, v25, 16, v23
	v_lshrrev_b32_e32 v25, v197, v17
	v_lshrrev_b32_e32 v205, v198, v17
	v_lshrrev_b32_e32 v17, v199, v17
	v_lshlrev_b32_e32 v25, 12, v25
	v_lshlrev_b32_e32 v205, 20, v205
	v_lshlrev_b32_e32 v17, 28, v17
	v_and_or_b32 v25, v25, s17, v23
	v_and_b32_e32 v205, 0x100000, v205
	v_and_b32_e32 v17, 0x10000000, v17
	v_or3_b32 v17, v205, v17, v25
	v_lshrrev_b32_e32 v25, 8, v25
	v_and_b32_e32 v23, 31, v23
	v_and_b32_e32 v25, 31, v25
	v_mul_u32_u24_sdwa v205, v16, s52 dst_sel:DWORD dst_unused:UNUSED_PAD src0_sel:WORD_0 src1_sel:DWORD
	v_mul_u32_u24_sdwa v206, v16, s52 dst_sel:DWORD dst_unused:UNUSED_PAD src0_sel:WORD_1 src1_sel:DWORD
	v_cvt_f16_u16_e32 v16, v23
	v_cvt_f16_u16_e32 v23, v25
	v_pack_b32_f16 v16, v16, v23
	v_pk_fma_f16 v23, v16, v205, v206
	v_and_b32_sdwa v16, v17, v202 dst_sel:DWORD dst_unused:UNUSED_PAD src0_sel:WORD_1 src1_sel:DWORD
	v_cvt_f16_u16_sdwa v25, v17 dst_sel:DWORD dst_unused:UNUSED_PAD src0_sel:BYTE_3
	v_cvt_f16_u16_e32 v207, v16
	v_lshl_add_u64 v[16:17], v[148:149], 0, s[26:27]
	global_load_dword v209, v[16:17], off
	v_lshl_add_u64 v[16:17], v[152:153], 0, s[26:27]
	global_load_dwordx2 v[16:17], v[16:17], off offset:-4
	v_pack_b32_f16 v25, v207, v25
	v_pk_fma_f16 v25, v25, v205, v206
	v_pk_fma_f16 v21, v23, v22, v21
	;; [unrolled: 1-line block ×3, first 2 shown]
	v_mul_u32_u24_sdwa v14, v14, s52 dst_sel:DWORD dst_unused:UNUSED_PAD src0_sel:WORD_1 src1_sel:DWORD
	s_waitcnt vmcnt(5)
	v_ashrrev_i32_e32 v22, v196, v210
	v_and_b32_e32 v22, 0xf0f0f0f, v22
	s_waitcnt vmcnt(4)
	v_lshrrev_b32_e32 v23, v195, v19
	v_lshlrev_b32_e32 v23, 4, v23
	v_and_or_b32 v22, v23, 16, v22
	v_lshrrev_b32_e32 v23, v197, v19
	v_lshrrev_b32_e32 v25, v198, v19
	;; [unrolled: 1-line block ×3, first 2 shown]
	v_lshlrev_b32_e32 v23, 12, v23
	v_lshlrev_b32_e32 v25, 20, v25
	v_lshlrev_b32_e32 v19, 28, v19
	v_and_or_b32 v23, v23, s17, v22
	v_and_b32_e32 v25, 0x100000, v25
	v_and_b32_e32 v19, 0x10000000, v19
	v_or3_b32 v19, v25, v19, v23
	v_lshrrev_b32_e32 v23, 8, v23
	v_and_b32_e32 v22, 31, v22
	v_and_b32_e32 v23, 31, v23
	v_mul_u32_u24_sdwa v25, v18, s52 dst_sel:DWORD dst_unused:UNUSED_PAD src0_sel:WORD_0 src1_sel:DWORD
	v_mul_u32_u24_sdwa v205, v18, s52 dst_sel:DWORD dst_unused:UNUSED_PAD src0_sel:WORD_1 src1_sel:DWORD
	v_cvt_f16_u16_e32 v18, v22
	v_cvt_f16_u16_e32 v22, v23
	v_pack_b32_f16 v18, v18, v22
	v_pk_fma_f16 v22, v18, v25, v205
	v_and_b32_sdwa v18, v19, v202 dst_sel:DWORD dst_unused:UNUSED_PAD src0_sel:WORD_1 src1_sel:DWORD
	v_cvt_f16_u16_sdwa v23, v19 dst_sel:DWORD dst_unused:UNUSED_PAD src0_sel:BYTE_3
	v_cvt_f16_u16_e32 v206, v18
	v_lshl_add_u64 v[18:19], v[142:143], 0, s[26:27]
	global_load_dword v207, v[18:19], off
	v_lshl_add_u64 v[18:19], v[146:147], 0, s[26:27]
	global_load_dwordx2 v[18:19], v[18:19], off offset:-4
	v_pack_b32_f16 v23, v206, v23
	v_pk_fma_f16 v23, v23, v25, v205
	v_pk_fma_f16 v21, v22, v14, v21
	;; [unrolled: 1-line block ×3, first 2 shown]
	s_waitcnt vmcnt(5)
	v_ashrrev_i32_e32 v22, v196, v208
	v_and_b32_e32 v22, 0xf0f0f0f, v22
	s_waitcnt vmcnt(4)
	v_lshrrev_b32_e32 v23, v195, v13
	v_lshlrev_b32_e32 v23, 4, v23
	v_and_or_b32 v22, v23, 16, v22
	v_lshrrev_b32_e32 v23, v197, v13
	v_lshrrev_b32_e32 v25, v198, v13
	v_lshrrev_b32_e32 v13, v199, v13
	v_lshlrev_b32_e32 v23, 12, v23
	v_lshlrev_b32_e32 v25, 20, v25
	;; [unrolled: 1-line block ×3, first 2 shown]
	v_and_or_b32 v23, v23, s17, v22
	v_and_b32_e32 v25, 0x100000, v25
	v_and_b32_e32 v13, 0x10000000, v13
	v_or3_b32 v13, v25, v13, v23
	v_lshrrev_b32_e32 v23, 8, v23
	v_and_b32_e32 v22, 31, v22
	v_and_b32_e32 v23, 31, v23
	v_mul_u32_u24_sdwa v25, v12, s52 dst_sel:DWORD dst_unused:UNUSED_PAD src0_sel:WORD_0 src1_sel:DWORD
	v_mul_u32_u24_sdwa v205, v12, s52 dst_sel:DWORD dst_unused:UNUSED_PAD src0_sel:WORD_1 src1_sel:DWORD
	v_cvt_f16_u16_e32 v12, v22
	v_cvt_f16_u16_e32 v22, v23
	v_pack_b32_f16 v12, v12, v22
	v_pk_fma_f16 v22, v12, v25, v205
	v_and_b32_sdwa v12, v13, v202 dst_sel:DWORD dst_unused:UNUSED_PAD src0_sel:WORD_1 src1_sel:DWORD
	v_cvt_f16_u16_sdwa v23, v13 dst_sel:DWORD dst_unused:UNUSED_PAD src0_sel:BYTE_3
	v_cvt_f16_u16_e32 v206, v12
	v_lshl_add_u64 v[12:13], v[136:137], 0, s[26:27]
	global_load_dword v208, v[12:13], off
	v_lshl_add_u64 v[12:13], v[140:141], 0, s[26:27]
	global_load_dwordx2 v[12:13], v[12:13], off offset:-4
	v_pack_b32_f16 v23, v206, v23
	v_mul_u32_u24_sdwa v20, v15, s52 dst_sel:DWORD dst_unused:UNUSED_PAD src0_sel:WORD_0 src1_sel:DWORD
	v_pk_fma_f16 v23, v23, v25, v205
	v_pk_fma_f16 v21, v22, v20, v21
	;; [unrolled: 1-line block ×3, first 2 shown]
	v_mul_u32_u24_sdwa v22, v15, s52 dst_sel:DWORD dst_unused:UNUSED_PAD src0_sel:WORD_1 src1_sel:DWORD
	s_waitcnt vmcnt(5)
	v_ashrrev_i32_e32 v14, v196, v209
	v_and_b32_e32 v14, 0xf0f0f0f, v14
	s_waitcnt vmcnt(4)
	v_lshrrev_b32_e32 v15, v195, v17
	v_lshlrev_b32_e32 v15, 4, v15
	v_and_or_b32 v14, v15, 16, v14
	v_lshrrev_b32_e32 v15, v197, v17
	v_lshrrev_b32_e32 v23, v198, v17
	;; [unrolled: 1-line block ×3, first 2 shown]
	v_lshlrev_b32_e32 v15, 12, v15
	v_lshlrev_b32_e32 v23, 20, v23
	;; [unrolled: 1-line block ×3, first 2 shown]
	v_and_or_b32 v15, v15, s17, v14
	v_and_b32_e32 v23, 0x100000, v23
	v_and_b32_e32 v17, 0x10000000, v17
	v_or3_b32 v17, v23, v17, v15
	v_lshrrev_b32_e32 v15, 8, v15
	v_and_b32_e32 v14, 31, v14
	v_and_b32_e32 v15, 31, v15
	v_cvt_f16_u16_e32 v14, v14
	v_cvt_f16_u16_e32 v15, v15
	v_mul_u32_u24_sdwa v23, v16, s52 dst_sel:DWORD dst_unused:UNUSED_PAD src0_sel:WORD_0 src1_sel:DWORD
	v_mul_u32_u24_sdwa v16, v16, s52 dst_sel:DWORD dst_unused:UNUSED_PAD src0_sel:WORD_1 src1_sel:DWORD
	v_pack_b32_f16 v14, v14, v15
	v_pk_fma_f16 v25, v14, v23, v16
	v_and_b32_sdwa v14, v17, v202 dst_sel:DWORD dst_unused:UNUSED_PAD src0_sel:WORD_1 src1_sel:DWORD
	v_cvt_f16_u16_e32 v205, v14
	v_lshl_add_u64 v[14:15], v[130:131], 0, s[26:27]
	v_cvt_f16_u16_sdwa v17, v17 dst_sel:DWORD dst_unused:UNUSED_PAD src0_sel:BYTE_3
	global_load_dword v206, v[14:15], off
	v_lshl_add_u64 v[14:15], v[134:135], 0, s[26:27]
	global_load_dwordx2 v[14:15], v[14:15], off offset:-4
	v_pack_b32_f16 v17, v205, v17
	v_pk_fma_f16 v16, v17, v23, v16
	v_pk_fma_f16 v21, v25, v22, v21
	;; [unrolled: 1-line block ×3, first 2 shown]
	s_waitcnt lgkmcnt(0)
	v_mul_u32_u24_sdwa v22, v8, s52 dst_sel:DWORD dst_unused:UNUSED_PAD src0_sel:WORD_0 src1_sel:DWORD
	s_waitcnt vmcnt(5)
	v_ashrrev_i32_e32 v16, v196, v207
	v_and_b32_e32 v16, 0xf0f0f0f, v16
	s_waitcnt vmcnt(4)
	v_lshrrev_b32_e32 v17, v195, v19
	v_lshlrev_b32_e32 v17, 4, v17
	v_and_or_b32 v16, v17, 16, v16
	v_lshrrev_b32_e32 v17, v197, v19
	v_lshrrev_b32_e32 v23, v198, v19
	;; [unrolled: 1-line block ×3, first 2 shown]
	v_lshlrev_b32_e32 v17, 12, v17
	v_lshlrev_b32_e32 v23, 20, v23
	;; [unrolled: 1-line block ×3, first 2 shown]
	v_and_or_b32 v17, v17, s17, v16
	v_and_b32_e32 v23, 0x100000, v23
	v_and_b32_e32 v19, 0x10000000, v19
	v_or3_b32 v19, v23, v19, v17
	v_lshrrev_b32_e32 v17, 8, v17
	v_and_b32_e32 v16, 31, v16
	v_and_b32_e32 v17, 31, v17
	v_cvt_f16_u16_e32 v16, v16
	v_cvt_f16_u16_e32 v17, v17
	v_mul_u32_u24_sdwa v23, v18, s52 dst_sel:DWORD dst_unused:UNUSED_PAD src0_sel:WORD_0 src1_sel:DWORD
	v_mul_u32_u24_sdwa v18, v18, s52 dst_sel:DWORD dst_unused:UNUSED_PAD src0_sel:WORD_1 src1_sel:DWORD
	v_pack_b32_f16 v16, v16, v17
	v_pk_fma_f16 v25, v16, v23, v18
	v_and_b32_sdwa v16, v19, v202 dst_sel:DWORD dst_unused:UNUSED_PAD src0_sel:WORD_1 src1_sel:DWORD
	v_cvt_f16_u16_e32 v205, v16
	v_lshl_add_u64 v[16:17], v[124:125], 0, s[26:27]
	v_cvt_f16_u16_sdwa v19, v19 dst_sel:DWORD dst_unused:UNUSED_PAD src0_sel:BYTE_3
	global_load_dword v207, v[16:17], off
	v_lshl_add_u64 v[16:17], v[128:129], 0, s[26:27]
	global_load_dwordx2 v[16:17], v[16:17], off offset:-4
	v_pack_b32_f16 v19, v205, v19
	v_pk_fma_f16 v18, v19, v23, v18
	v_pk_fma_f16 v19, v25, v22, v21
	;; [unrolled: 1-line block ×3, first 2 shown]
	s_waitcnt vmcnt(5)
	v_ashrrev_i32_e32 v20, v196, v208
	v_and_b32_e32 v20, 0xf0f0f0f, v20
	s_waitcnt vmcnt(4)
	v_lshrrev_b32_e32 v21, v195, v13
	v_lshlrev_b32_e32 v21, 4, v21
	v_and_or_b32 v20, v21, 16, v20
	v_lshrrev_b32_e32 v21, v197, v13
	v_lshrrev_b32_e32 v22, v198, v13
	;; [unrolled: 1-line block ×3, first 2 shown]
	v_lshlrev_b32_e32 v21, 12, v21
	v_lshlrev_b32_e32 v22, 20, v22
	;; [unrolled: 1-line block ×3, first 2 shown]
	v_and_or_b32 v21, v21, s17, v20
	v_and_b32_e32 v22, 0x100000, v22
	v_and_b32_e32 v13, 0x10000000, v13
	v_or3_b32 v13, v22, v13, v21
	v_lshrrev_b32_e32 v21, 8, v21
	v_and_b32_e32 v20, 31, v20
	v_and_b32_e32 v21, 31, v21
	v_mul_u32_u24_sdwa v22, v12, s52 dst_sel:DWORD dst_unused:UNUSED_PAD src0_sel:WORD_0 src1_sel:DWORD
	v_mul_u32_u24_sdwa v23, v12, s52 dst_sel:DWORD dst_unused:UNUSED_PAD src0_sel:WORD_1 src1_sel:DWORD
	v_cvt_f16_u16_e32 v12, v20
	v_cvt_f16_u16_e32 v20, v21
	v_pack_b32_f16 v12, v12, v20
	v_pk_fma_f16 v20, v12, v22, v23
	v_and_b32_sdwa v12, v13, v202 dst_sel:DWORD dst_unused:UNUSED_PAD src0_sel:WORD_1 src1_sel:DWORD
	v_cvt_f16_u16_sdwa v21, v13 dst_sel:DWORD dst_unused:UNUSED_PAD src0_sel:BYTE_3
	v_cvt_f16_u16_e32 v25, v12
	v_lshl_add_u64 v[12:13], v[118:119], 0, s[26:27]
	global_load_dword v205, v[12:13], off
	v_lshl_add_u64 v[12:13], v[122:123], 0, s[26:27]
	global_load_dwordx2 v[12:13], v[12:13], off offset:-4
	v_pack_b32_f16 v21, v25, v21
	v_mul_u32_u24_sdwa v8, v8, s52 dst_sel:DWORD dst_unused:UNUSED_PAD src0_sel:WORD_1 src1_sel:DWORD
	v_pk_fma_f16 v21, v21, v22, v23
	v_pk_fma_f16 v19, v20, v8, v19
	;; [unrolled: 1-line block ×3, first 2 shown]
	v_mul_u32_u24_sdwa v18, v9, s52 dst_sel:DWORD dst_unused:UNUSED_PAD src0_sel:WORD_0 src1_sel:DWORD
	s_waitcnt vmcnt(5)
	v_ashrrev_i32_e32 v20, v196, v206
	v_and_b32_e32 v20, 0xf0f0f0f, v20
	s_waitcnt vmcnt(4)
	v_lshrrev_b32_e32 v21, v195, v15
	v_lshlrev_b32_e32 v21, 4, v21
	v_and_or_b32 v20, v21, 16, v20
	v_lshrrev_b32_e32 v21, v197, v15
	v_lshrrev_b32_e32 v22, v198, v15
	;; [unrolled: 1-line block ×3, first 2 shown]
	v_lshlrev_b32_e32 v21, 12, v21
	v_lshlrev_b32_e32 v22, 20, v22
	;; [unrolled: 1-line block ×3, first 2 shown]
	v_and_or_b32 v21, v21, s17, v20
	v_and_b32_e32 v22, 0x100000, v22
	v_and_b32_e32 v15, 0x10000000, v15
	v_or3_b32 v15, v22, v15, v21
	v_lshrrev_b32_e32 v21, 8, v21
	v_and_b32_e32 v20, 31, v20
	v_and_b32_e32 v21, 31, v21
	v_mul_u32_u24_sdwa v22, v14, s52 dst_sel:DWORD dst_unused:UNUSED_PAD src0_sel:WORD_0 src1_sel:DWORD
	v_mul_u32_u24_sdwa v23, v14, s52 dst_sel:DWORD dst_unused:UNUSED_PAD src0_sel:WORD_1 src1_sel:DWORD
	v_cvt_f16_u16_e32 v14, v20
	v_cvt_f16_u16_e32 v20, v21
	v_pack_b32_f16 v14, v14, v20
	v_pk_fma_f16 v20, v14, v22, v23
	v_and_b32_sdwa v14, v15, v202 dst_sel:DWORD dst_unused:UNUSED_PAD src0_sel:WORD_1 src1_sel:DWORD
	v_cvt_f16_u16_sdwa v21, v15 dst_sel:DWORD dst_unused:UNUSED_PAD src0_sel:BYTE_3
	v_cvt_f16_u16_e32 v25, v14
	v_lshl_add_u64 v[14:15], v[112:113], 0, s[26:27]
	global_load_dword v206, v[14:15], off
	v_lshl_add_u64 v[14:15], v[116:117], 0, s[26:27]
	global_load_dwordx2 v[14:15], v[14:15], off offset:-4
	v_pack_b32_f16 v21, v25, v21
	v_pk_fma_f16 v21, v21, v22, v23
	v_pk_fma_f16 v19, v20, v18, v19
	;; [unrolled: 1-line block ×3, first 2 shown]
	v_mul_u32_u24_sdwa v20, v9, s52 dst_sel:DWORD dst_unused:UNUSED_PAD src0_sel:WORD_1 src1_sel:DWORD
	s_waitcnt vmcnt(5)
	v_ashrrev_i32_e32 v8, v196, v207
	v_and_b32_e32 v8, 0xf0f0f0f, v8
	s_waitcnt vmcnt(4)
	v_lshrrev_b32_e32 v9, v195, v17
	v_lshlrev_b32_e32 v9, 4, v9
	v_and_or_b32 v8, v9, 16, v8
	v_lshrrev_b32_e32 v9, v197, v17
	v_lshrrev_b32_e32 v21, v198, v17
	;; [unrolled: 1-line block ×3, first 2 shown]
	v_lshlrev_b32_e32 v9, 12, v9
	v_lshlrev_b32_e32 v21, 20, v21
	;; [unrolled: 1-line block ×3, first 2 shown]
	v_and_or_b32 v9, v9, s17, v8
	v_and_b32_e32 v21, 0x100000, v21
	v_and_b32_e32 v17, 0x10000000, v17
	v_or3_b32 v17, v21, v17, v9
	v_lshrrev_b32_e32 v9, 8, v9
	v_and_b32_e32 v8, 31, v8
	v_and_b32_e32 v9, 31, v9
	v_cvt_f16_u16_e32 v8, v8
	v_cvt_f16_u16_e32 v9, v9
	v_pack_b32_f16 v22, v8, v9
	v_lshl_add_u64 v[8:9], v[106:107], 0, s[26:27]
	global_load_dword v23, v[8:9], off
	v_lshl_add_u64 v[8:9], v[110:111], 0, s[26:27]
	global_load_dwordx2 v[8:9], v[8:9], off offset:-4
	v_and_b32_sdwa v25, v17, v202 dst_sel:DWORD dst_unused:UNUSED_PAD src0_sel:WORD_1 src1_sel:DWORD
	v_cvt_f16_u16_sdwa v17, v17 dst_sel:DWORD dst_unused:UNUSED_PAD src0_sel:BYTE_3
	v_cvt_f16_u16_e32 v25, v25
	v_mul_u32_u24_sdwa v21, v16, s52 dst_sel:DWORD dst_unused:UNUSED_PAD src0_sel:WORD_0 src1_sel:DWORD
	v_mul_u32_u24_sdwa v16, v16, s52 dst_sel:DWORD dst_unused:UNUSED_PAD src0_sel:WORD_1 src1_sel:DWORD
	v_pack_b32_f16 v17, v25, v17
	v_pk_fma_f16 v22, v22, v21, v16
	v_pk_fma_f16 v16, v17, v21, v16
	v_pk_fma_f16 v19, v22, v20, v19
	v_pk_fma_f16 v18, v16, v20, v18
	s_waitcnt vmcnt(5)
	v_ashrrev_i32_e32 v16, v196, v205
	v_and_b32_e32 v16, 0xf0f0f0f, v16
	s_waitcnt vmcnt(4)
	v_lshrrev_b32_e32 v17, v195, v13
	v_lshlrev_b32_e32 v17, 4, v17
	v_and_or_b32 v16, v17, 16, v16
	v_lshrrev_b32_e32 v17, v197, v13
	v_lshrrev_b32_e32 v21, v198, v13
	;; [unrolled: 1-line block ×3, first 2 shown]
	v_lshlrev_b32_e32 v17, 12, v17
	v_lshlrev_b32_e32 v21, 20, v21
	;; [unrolled: 1-line block ×3, first 2 shown]
	v_and_or_b32 v17, v17, s17, v16
	v_and_b32_e32 v21, 0x100000, v21
	v_and_b32_e32 v13, 0x10000000, v13
	v_or3_b32 v13, v21, v13, v17
	v_and_b32_e32 v21, 31, v16
	v_lshrrev_b32_e32 v16, 8, v17
	v_and_b32_e32 v22, 31, v16
	v_lshl_add_u64 v[16:17], v[100:101], 0, s[26:27]
	global_load_dword v205, v[16:17], off
	v_lshl_add_u64 v[16:17], v[104:105], 0, s[26:27]
	global_load_dwordx2 v[16:17], v[16:17], off offset:-4
	v_cvt_f16_u16_e32 v21, v21
	v_cvt_f16_u16_e32 v22, v22
	v_pack_b32_f16 v21, v21, v22
	v_and_b32_sdwa v22, v13, v202 dst_sel:DWORD dst_unused:UNUSED_PAD src0_sel:WORD_1 src1_sel:DWORD
	v_cvt_f16_u16_sdwa v13, v13 dst_sel:DWORD dst_unused:UNUSED_PAD src0_sel:BYTE_3
	v_cvt_f16_u16_e32 v22, v22
	v_mul_u32_u24_sdwa v25, v12, s52 dst_sel:DWORD dst_unused:UNUSED_PAD src0_sel:WORD_0 src1_sel:DWORD
	v_mul_u32_u24_sdwa v12, v12, s52 dst_sel:DWORD dst_unused:UNUSED_PAD src0_sel:WORD_1 src1_sel:DWORD
	v_pack_b32_f16 v13, v22, v13
	v_mul_u32_u24_sdwa v20, v10, s52 dst_sel:DWORD dst_unused:UNUSED_PAD src0_sel:WORD_0 src1_sel:DWORD
	v_pk_fma_f16 v21, v21, v25, v12
	v_pk_fma_f16 v12, v13, v25, v12
	;; [unrolled: 1-line block ×4, first 2 shown]
	v_mul_u32_u24_sdwa v10, v10, s52 dst_sel:DWORD dst_unused:UNUSED_PAD src0_sel:WORD_1 src1_sel:DWORD
	s_waitcnt vmcnt(5)
	v_ashrrev_i32_e32 v18, v196, v206
	v_and_b32_e32 v18, 0xf0f0f0f, v18
	s_waitcnt vmcnt(4)
	v_lshrrev_b32_e32 v19, v195, v15
	v_lshlrev_b32_e32 v19, 4, v19
	v_and_or_b32 v18, v19, 16, v18
	v_lshrrev_b32_e32 v19, v197, v15
	v_lshrrev_b32_e32 v20, v198, v15
	;; [unrolled: 1-line block ×3, first 2 shown]
	v_lshlrev_b32_e32 v19, 12, v19
	v_lshlrev_b32_e32 v20, 20, v20
	v_lshlrev_b32_e32 v15, 28, v15
	v_and_or_b32 v19, v19, s17, v18
	v_and_b32_e32 v20, 0x100000, v20
	v_and_b32_e32 v15, 0x10000000, v15
	v_or3_b32 v15, v20, v15, v19
	v_lshrrev_b32_e32 v19, 8, v19
	v_and_b32_e32 v18, 31, v18
	v_and_b32_e32 v19, 31, v19
	v_cvt_f16_u16_e32 v18, v18
	v_cvt_f16_u16_e32 v19, v19
	v_pack_b32_f16 v18, v18, v19
	v_and_b32_sdwa v19, v15, v202 dst_sel:DWORD dst_unused:UNUSED_PAD src0_sel:WORD_1 src1_sel:DWORD
	v_cvt_f16_u16_sdwa v15, v15 dst_sel:DWORD dst_unused:UNUSED_PAD src0_sel:BYTE_3
	v_cvt_f16_u16_e32 v19, v19
	v_mul_u32_u24_sdwa v20, v14, s52 dst_sel:DWORD dst_unused:UNUSED_PAD src0_sel:WORD_0 src1_sel:DWORD
	v_mul_u32_u24_sdwa v14, v14, s52 dst_sel:DWORD dst_unused:UNUSED_PAD src0_sel:WORD_1 src1_sel:DWORD
	v_pack_b32_f16 v15, v19, v15
	v_pk_fma_f16 v18, v18, v20, v14
	v_pk_fma_f16 v14, v15, v20, v14
	;; [unrolled: 1-line block ×4, first 2 shown]
	s_waitcnt vmcnt(3)
	v_ashrrev_i32_e32 v14, v196, v23
	s_waitcnt vmcnt(2)
	v_lshrrev_b32_e32 v15, v195, v9
	v_and_b32_e32 v14, 0xf0f0f0f, v14
	v_lshlrev_b32_e32 v15, 4, v15
	v_and_or_b32 v14, v15, 16, v14
	v_lshrrev_b32_e32 v15, v197, v9
	v_lshrrev_b32_e32 v18, v198, v9
	;; [unrolled: 1-line block ×3, first 2 shown]
	v_lshlrev_b32_e32 v15, 12, v15
	v_lshlrev_b32_e32 v18, 20, v18
	;; [unrolled: 1-line block ×3, first 2 shown]
	v_and_or_b32 v15, v15, s17, v14
	v_and_b32_e32 v18, 0x100000, v18
	v_and_b32_e32 v9, 0x10000000, v9
	v_or3_b32 v9, v18, v9, v15
	v_lshrrev_b32_e32 v15, 8, v15
	v_and_b32_e32 v14, 31, v14
	v_and_b32_e32 v15, 31, v15
	v_cvt_f16_u16_e32 v14, v14
	v_cvt_f16_u16_e32 v15, v15
	v_pack_b32_f16 v14, v14, v15
	v_and_b32_sdwa v15, v9, v202 dst_sel:DWORD dst_unused:UNUSED_PAD src0_sel:WORD_1 src1_sel:DWORD
	v_cvt_f16_u16_sdwa v9, v9 dst_sel:DWORD dst_unused:UNUSED_PAD src0_sel:BYTE_3
	v_cvt_f16_u16_e32 v15, v15
	v_mul_u32_u24_sdwa v18, v8, s52 dst_sel:DWORD dst_unused:UNUSED_PAD src0_sel:WORD_0 src1_sel:DWORD
	v_mul_u32_u24_sdwa v8, v8, s52 dst_sel:DWORD dst_unused:UNUSED_PAD src0_sel:WORD_1 src1_sel:DWORD
	v_pack_b32_f16 v9, v15, v9
	v_mul_u32_u24_sdwa v12, v11, s52 dst_sel:DWORD dst_unused:UNUSED_PAD src0_sel:WORD_0 src1_sel:DWORD
	v_pk_fma_f16 v14, v14, v18, v8
	v_pk_fma_f16 v8, v9, v18, v8
	;; [unrolled: 1-line block ×4, first 2 shown]
	s_waitcnt vmcnt(1)
	v_ashrrev_i32_e32 v8, v196, v205
	s_waitcnt vmcnt(0)
	v_lshrrev_b32_e32 v12, v195, v17
	v_and_b32_e32 v8, 0xf0f0f0f, v8
	v_lshlrev_b32_e32 v12, 4, v12
	v_and_or_b32 v8, v12, 16, v8
	v_lshrrev_b32_e32 v12, v197, v17
	v_lshrrev_b32_e32 v13, v198, v17
	;; [unrolled: 1-line block ×3, first 2 shown]
	v_lshlrev_b32_e32 v12, 12, v12
	v_lshlrev_b32_e32 v13, 20, v13
	;; [unrolled: 1-line block ×3, first 2 shown]
	v_and_or_b32 v12, v12, s17, v8
	v_and_b32_e32 v13, 0x100000, v13
	v_and_b32_e32 v14, 0x10000000, v14
	v_or3_b32 v13, v13, v14, v12
	v_lshrrev_b32_e32 v12, 8, v12
	v_and_b32_e32 v8, 31, v8
	v_and_b32_e32 v12, 31, v12
	v_cvt_f16_u16_e32 v8, v8
	v_cvt_f16_u16_e32 v12, v12
	v_pack_b32_f16 v8, v8, v12
	v_and_b32_sdwa v12, v13, v202 dst_sel:DWORD dst_unused:UNUSED_PAD src0_sel:WORD_1 src1_sel:DWORD
	v_cvt_f16_u16_sdwa v13, v13 dst_sel:DWORD dst_unused:UNUSED_PAD src0_sel:BYTE_3
	v_cvt_f16_u16_e32 v12, v12
	v_mul_u32_u24_sdwa v14, v16, s52 dst_sel:DWORD dst_unused:UNUSED_PAD src0_sel:WORD_0 src1_sel:DWORD
	v_mul_u32_u24_sdwa v15, v16, s52 dst_sel:DWORD dst_unused:UNUSED_PAD src0_sel:WORD_1 src1_sel:DWORD
	v_pack_b32_f16 v12, v12, v13
	v_mul_u32_u24_sdwa v11, v11, s52 dst_sel:DWORD dst_unused:UNUSED_PAD src0_sel:WORD_1 src1_sel:DWORD
	v_pk_fma_f16 v8, v8, v14, v15
	v_pk_fma_f16 v12, v12, v14, v15
	;; [unrolled: 1-line block ×4, first 2 shown]
	v_lshl_add_u64 v[54:55], v[54:55], 0, s[38:39]
	v_lshl_add_u64 v[56:57], v[56:57], 0, s[38:39]
	;; [unrolled: 1-line block ×60, first 2 shown]
	s_cmp_ge_i32 s16, s42
	v_lshl_add_u64 v[178:179], v[178:179], 0, s[38:39]
	s_cbranch_scc1 .LBB18_38
; %bb.36:                               ;   in Loop: Header=BB18_11 Depth=1
	v_mov_b32_e32 v9, v204
	s_branch .LBB18_11
.LBB18_37:
	v_mov_b32_e32 v8, 0
	v_mov_b32_e32 v204, 0xfeffffff
	;; [unrolled: 1-line block ×3, first 2 shown]
.LBB18_38:
	s_cmp_lg_u64 s[24:25], 0
	v_or_b32_e32 v0, s3, v180
	s_cselect_b64 s[4:5], -1, 0
	v_cmp_eq_u32_e32 vcc, 0, v0
	s_and_b64 s[6:7], vcc, s[4:5]
	s_and_saveexec_b64 s[4:5], s[6:7]
	s_cbranch_execz .LBB18_40
; %bb.39:
	s_lshl_b64 s[6:7], s[40:41], 2
	s_add_u32 s6, s24, s6
	s_addc_u32 s7, s25, s7
	s_load_dword s6, s[6:7], 0x0
	v_max_f32_e32 v0, v204, v204
	s_mov_b32 s7, 0x3fb8aa3b
	s_mov_b32 s8, 0x42b17218
	s_waitcnt lgkmcnt(0)
	v_max_f32_e64 v1, s6, s6
	v_max_f32_e32 v0, v0, v1
	v_sub_f32_e32 v1, s6, v0
	v_mul_f32_e32 v2, 0x3fb8aa3b, v1
	v_fma_f32 v3, v1, s7, -v2
	v_rndne_f32_e32 v4, v2
	v_fmac_f32_e32 v3, 0x32a5705f, v1
	v_sub_f32_e32 v2, v2, v4
	v_add_f32_e32 v2, v2, v3
	v_cvt_i32_f32_e32 v3, v4
	v_exp_f32_e32 v2, v2
	s_mov_b32 s6, 0xc2ce8ed0
	v_cmp_ngt_f32_e32 vcc, s6, v1
	v_ldexp_f32 v2, v2, v3
	v_sub_f32_e32 v3, v204, v0
	v_mul_f32_e32 v4, 0x3fb8aa3b, v3
	v_fma_f32 v5, v3, s7, -v4
	v_rndne_f32_e32 v6, v4
	v_fmac_f32_e32 v5, 0x32a5705f, v3
	v_sub_f32_e32 v4, v4, v6
	v_add_f32_e32 v4, v4, v5
	v_exp_f32_e32 v4, v4
	v_cvt_i32_f32_e32 v5, v6
	v_cndmask_b32_e32 v2, 0, v2, vcc
	v_mov_b32_e32 v6, 0x7f800000
	v_cmp_nlt_f32_e32 vcc, s8, v1
	v_mov_b32_e32 v204, v0
	s_nop 0
	v_cndmask_b32_e32 v1, v6, v2, vcc
	v_ldexp_f32 v2, v4, v5
	v_cmp_ngt_f32_e32 vcc, s6, v3
	s_nop 1
	v_cndmask_b32_e32 v2, 0, v2, vcc
	v_cmp_nlt_f32_e32 vcc, s8, v3
	s_nop 1
	v_cndmask_b32_e32 v2, v6, v2, vcc
	v_cvt_f16_f32_e32 v3, v2
	v_cmp_eq_u32_e32 vcc, 0, v181
	s_nop 1
	v_cndmask_b32_e32 v1, 0, v1, vcc
	v_fmac_f32_e32 v1, v187, v2
	v_mul_u32_u24_e32 v2, 0x10001, v3
	v_pk_mul_f16 v8, v8, v2
	v_pk_mul_f16 v25, v25, v2
	v_mov_b32_e32 v187, v1
.LBB18_40:
	s_or_b64 exec, exec, s[4:5]
	s_and_saveexec_b64 s[4:5], s[14:15]
; %bb.41:
	v_mov_b32_e32 v0, 0xfeffffff
	v_mov_b32_e32 v1, 0
	v_add_u32_e32 v2, 0x400, v186
	ds_write2_b32 v2, v0, v1 offset1:32
; %bb.42:
	s_or_b64 exec, exec, s[4:5]
	v_cmp_eq_u32_e32 vcc, 0, v181
	v_lshlrev_b32_e32 v1, 2, v180
	s_waitcnt lgkmcnt(0)
	s_barrier
	s_and_saveexec_b64 s[4:5], vcc
; %bb.43:
	ds_write_b32 v1, v204 offset:1024
; %bb.44:
	s_or_b64 exec, exec, s[4:5]
	v_mbcnt_hi_u32_b32 v0, -1, v182
	s_waitcnt lgkmcnt(0)
	s_barrier
	v_and_b32_e32 v2, 0x60, v0
	ds_read_b32 v4, v186 offset:1024
	v_add_u32_e32 v2, 32, v2
	v_xor_b32_e32 v3, 16, v0
	v_cmp_lt_i32_e64 s[4:5], v3, v2
	v_xor_b32_e32 v6, 8, v0
	v_xor_b32_e32 v10, 1, v0
	v_cndmask_b32_e64 v3, v0, v3, s[4:5]
	v_lshlrev_b32_e32 v3, 2, v3
	s_waitcnt lgkmcnt(0)
	ds_bpermute_b32 v5, v3, v4
	v_cmp_lt_i32_e64 s[4:5], v6, v2
	v_max_f32_e32 v4, v4, v4
	v_lshlrev_b32_e32 v12, 3, v181
	v_cndmask_b32_e64 v6, v0, v6, s[4:5]
	s_waitcnt lgkmcnt(0)
	v_max_f32_e32 v5, v5, v5
	v_lshlrev_b32_e32 v6, 2, v6
	v_max_f32_e32 v4, v4, v5
	ds_bpermute_b32 v7, v6, v4
	v_xor_b32_e32 v5, 4, v0
	v_cmp_lt_i32_e64 s[4:5], v5, v2
	s_waitcnt lgkmcnt(0)
	v_max_f32_e32 v7, v7, v7
	v_cndmask_b32_e64 v5, v0, v5, s[4:5]
	v_lshlrev_b32_e32 v5, 2, v5
	v_max_f32_e32 v7, v4, v7
	ds_bpermute_b32 v9, v5, v7
	v_xor_b32_e32 v4, 2, v0
	v_cmp_lt_i32_e64 s[4:5], v4, v2
	s_waitcnt lgkmcnt(0)
	v_max_f32_e32 v9, v9, v9
	v_cndmask_b32_e64 v4, v0, v4, s[4:5]
	v_lshlrev_b32_e32 v4, 2, v4
	v_max_f32_e32 v7, v7, v9
	ds_bpermute_b32 v9, v4, v7
	v_cmp_lt_i32_e64 s[4:5], v10, v2
	s_nop 1
	v_cndmask_b32_e64 v0, v0, v10, s[4:5]
	v_lshlrev_b32_e32 v2, 2, v0
	s_waitcnt lgkmcnt(0)
	v_max_f32_e32 v0, v9, v9
	v_max_f32_e32 v0, v7, v0
	ds_bpermute_b32 v7, v2, v0
	s_mov_b32 s4, 0x3fb8aa3b
	s_waitcnt lgkmcnt(0)
	v_max_f32_e32 v7, v7, v7
	v_max_f32_e32 v0, v0, v7
	v_sub_f32_e32 v7, v204, v0
	v_mul_f32_e32 v9, 0x3fb8aa3b, v7
	v_fma_f32 v10, v7, s4, -v9
	v_rndne_f32_e32 v11, v9
	v_fmamk_f32 v10, v7, 0x32a5705f, v10
	v_sub_f32_e32 v9, v9, v11
	v_add_f32_e32 v9, v9, v10
	v_exp_f32_e32 v9, v9
	v_cvt_i32_f32_e32 v10, v11
	s_mov_b32 s4, 0xc2ce8ed0
	v_cmp_ngt_f32_e64 s[4:5], s4, v7
	v_ldexp_f32 v9, v9, v10
	s_nop 0
	v_cndmask_b32_e64 v9, 0, v9, s[4:5]
	s_mov_b32 s4, 0x42b17218
	v_mov_b32_e32 v10, 0x7f800000
	v_cmp_nlt_f32_e64 s[4:5], s4, v7
	s_nop 1
	v_cndmask_b32_e64 v7, v10, v9, s[4:5]
	v_mul_f32_e32 v9, v187, v7
	ds_bpermute_b32 v9, v3, v9
	s_load_dword s4, s[0:1], 0xd4
	s_waitcnt lgkmcnt(0)
	v_fmac_f32_e32 v9, v187, v7
	ds_bpermute_b32 v10, v6, v9
	v_cvt_f16_f32_e32 v7, v7
	s_waitcnt lgkmcnt(0)
	v_add_f32_e32 v9, v9, v10
	ds_bpermute_b32 v10, v5, v9
	v_mul_u32_u24_e32 v11, 0x10001, v7
	s_waitcnt lgkmcnt(0)
	v_add_f32_e32 v9, v9, v10
	ds_bpermute_b32 v10, v4, v9
	s_waitcnt lgkmcnt(0)
	v_add_f32_e32 v7, v9, v10
	ds_bpermute_b32 v9, v2, v7
	v_pk_mul_f16 v10, v8, v11
	v_pk_mul_f16 v11, v25, v11
	v_lshl_add_u32 v8, v180, 8, v12
	ds_write_b64 v8, v[10:11]
	s_and_saveexec_b64 s[0:1], vcc
	s_cbranch_execz .LBB18_46
; %bb.45:
	s_waitcnt lgkmcnt(1)
	v_add_f32_e32 v7, v7, v9
	ds_write_b32 v1, v7 offset:1152
.LBB18_46:
	s_or_b64 exec, exec, s[0:1]
	s_waitcnt lgkmcnt(0)
	s_barrier
	ds_read_b32 v1, v186 offset:1152
	ds_read_u16 v12, v185 offset:768
	ds_read_u16 v8, v185
	ds_read_u16 v11, v185 offset:256
	ds_read_u16 v13, v185 offset:512
	s_mul_i32 s0, s33, s34
	s_add_i32 s0, s0, s2
	s_waitcnt lgkmcnt(4)
	ds_bpermute_b32 v3, v3, v1
	s_mul_i32 s0, s0, s35
	s_add_i32 s0, s0, s40
	s_mul_i32 s0, s4, s0
	s_add_i32 s0, s0, s3
	s_waitcnt lgkmcnt(0)
	v_add_f32_e32 v7, v1, v3
	ds_bpermute_b32 v9, v6, v7
	v_cvt_f32_f16_e32 v6, v8
	v_mov_b32_e32 v3, 0
	v_mov_b32_e32 v8, v3
	;; [unrolled: 1-line block ×3, first 2 shown]
	s_waitcnt lgkmcnt(0)
	v_pk_add_f32 v[6:7], v[6:7], v[8:9]
	ds_bpermute_b32 v9, v5, v7
	v_cvt_f32_f16_e32 v8, v11
	v_mov_b32_e32 v11, s29
	s_cmp_eq_u32 s4, 1
	s_waitcnt lgkmcnt(0)
	v_pk_add_f32 v[6:7], v[6:7], v[8:9]
	ds_bpermute_b32 v5, v4, v7
	v_cvt_f32_f16_e32 v4, v13
	s_waitcnt lgkmcnt(0)
	v_pk_add_f32 v[4:5], v[6:7], v[4:5]
	ds_bpermute_b32 v7, v2, v5
	v_cvt_f32_f16_e32 v6, v12
	v_lshl_or_b32 v2, s0, 7, v183
	s_waitcnt lgkmcnt(0)
	v_pk_add_f32 v[4:5], v[4:5], v[6:7]
	s_nop 0
	v_div_scale_f32 v1, s[2:3], v5, v5, v4
	v_rcp_f32_e32 v8, v1
	v_lshl_add_u64 v[6:7], v[2:3], 2, v[10:11]
	v_div_scale_f32 v2, vcc, v4, v5, v4
	v_fma_f32 v9, -v1, v8, 1.0
	v_fmac_f32_e32 v8, v9, v8
	v_mul_f32_e32 v9, v2, v8
	v_fma_f32 v10, -v1, v9, v2
	v_fmac_f32_e32 v9, v10, v8
	v_fma_f32 v1, -v1, v9, v2
	v_div_fmas_f32 v1, v1, v8, v9
	v_div_fixup_f32 v1, v1, v5, v4
	s_cselect_b64 vcc, -1, 0
	s_cmp_lg_u32 s4, 1
	v_cndmask_b32_e32 v1, v4, v1, vcc
	s_cselect_b64 s[2:3], -1, 0
	v_cmp_eq_u32_e32 vcc, 0, v183
	s_and_b64 s[2:3], vcc, s[2:3]
	global_store_dword v[6:7], v1, off
	s_and_saveexec_b64 s[4:5], s[2:3]
	s_cbranch_execz .LBB18_48
; %bb.47:
	s_mov_b32 s1, 0
	s_lshl_b64 s[0:1], s[0:1], 3
	s_add_u32 s0, s30, s0
	s_addc_u32 s1, s31, s1
	v_mov_b32_e32 v1, v5
	global_store_dwordx2 v3, v[0:1], s[0:1]
.LBB18_48:
	s_endpgm
	.section	.rodata,"a",@progbits
	.p2align	6, 0x0
	.amdhsa_kernel _ZL18flash_attn_ext_vecILi128ELi1EL9ggml_type7ELS0_7ELb1EEvPKcS2_S2_S2_S2_PKiPfP15HIP_vector_typeIfLj2EEffffjfiS6_IjLj3EEiiiiiiiiiiiliiliiiiil
		.amdhsa_group_segment_fixed_size 1280
		.amdhsa_private_segment_fixed_size 0
		.amdhsa_kernarg_size 464
		.amdhsa_user_sgpr_count 2
		.amdhsa_user_sgpr_dispatch_ptr 0
		.amdhsa_user_sgpr_queue_ptr 0
		.amdhsa_user_sgpr_kernarg_segment_ptr 1
		.amdhsa_user_sgpr_dispatch_id 0
		.amdhsa_user_sgpr_kernarg_preload_length 0
		.amdhsa_user_sgpr_kernarg_preload_offset 0
		.amdhsa_user_sgpr_private_segment_size 0
		.amdhsa_uses_dynamic_stack 0
		.amdhsa_enable_private_segment 0
		.amdhsa_system_sgpr_workgroup_id_x 1
		.amdhsa_system_sgpr_workgroup_id_y 1
		.amdhsa_system_sgpr_workgroup_id_z 1
		.amdhsa_system_sgpr_workgroup_info 0
		.amdhsa_system_vgpr_workitem_id 1
		.amdhsa_next_free_vgpr 232
		.amdhsa_next_free_sgpr 60
		.amdhsa_accum_offset 232
		.amdhsa_reserve_vcc 1
		.amdhsa_float_round_mode_32 0
		.amdhsa_float_round_mode_16_64 0
		.amdhsa_float_denorm_mode_32 3
		.amdhsa_float_denorm_mode_16_64 3
		.amdhsa_dx10_clamp 1
		.amdhsa_ieee_mode 1
		.amdhsa_fp16_overflow 0
		.amdhsa_tg_split 0
		.amdhsa_exception_fp_ieee_invalid_op 0
		.amdhsa_exception_fp_denorm_src 0
		.amdhsa_exception_fp_ieee_div_zero 0
		.amdhsa_exception_fp_ieee_overflow 0
		.amdhsa_exception_fp_ieee_underflow 0
		.amdhsa_exception_fp_ieee_inexact 0
		.amdhsa_exception_int_div_zero 0
	.end_amdhsa_kernel
	.section	.text._ZL18flash_attn_ext_vecILi128ELi1EL9ggml_type7ELS0_7ELb1EEvPKcS2_S2_S2_S2_PKiPfP15HIP_vector_typeIfLj2EEffffjfiS6_IjLj3EEiiiiiiiiiiiliiliiiiil,"axG",@progbits,_ZL18flash_attn_ext_vecILi128ELi1EL9ggml_type7ELS0_7ELb1EEvPKcS2_S2_S2_S2_PKiPfP15HIP_vector_typeIfLj2EEffffjfiS6_IjLj3EEiiiiiiiiiiiliiliiiiil,comdat
.Lfunc_end18:
	.size	_ZL18flash_attn_ext_vecILi128ELi1EL9ggml_type7ELS0_7ELb1EEvPKcS2_S2_S2_S2_PKiPfP15HIP_vector_typeIfLj2EEffffjfiS6_IjLj3EEiiiiiiiiiiiliiliiiiil, .Lfunc_end18-_ZL18flash_attn_ext_vecILi128ELi1EL9ggml_type7ELS0_7ELb1EEvPKcS2_S2_S2_S2_PKiPfP15HIP_vector_typeIfLj2EEffffjfiS6_IjLj3EEiiiiiiiiiiiliiliiiiil
                                        ; -- End function
	.set _ZL18flash_attn_ext_vecILi128ELi1EL9ggml_type7ELS0_7ELb1EEvPKcS2_S2_S2_S2_PKiPfP15HIP_vector_typeIfLj2EEffffjfiS6_IjLj3EEiiiiiiiiiiiliiliiiiil.num_vgpr, 232
	.set _ZL18flash_attn_ext_vecILi128ELi1EL9ggml_type7ELS0_7ELb1EEvPKcS2_S2_S2_S2_PKiPfP15HIP_vector_typeIfLj2EEffffjfiS6_IjLj3EEiiiiiiiiiiiliiliiiiil.num_agpr, 0
	.set _ZL18flash_attn_ext_vecILi128ELi1EL9ggml_type7ELS0_7ELb1EEvPKcS2_S2_S2_S2_PKiPfP15HIP_vector_typeIfLj2EEffffjfiS6_IjLj3EEiiiiiiiiiiiliiliiiiil.numbered_sgpr, 60
	.set _ZL18flash_attn_ext_vecILi128ELi1EL9ggml_type7ELS0_7ELb1EEvPKcS2_S2_S2_S2_PKiPfP15HIP_vector_typeIfLj2EEffffjfiS6_IjLj3EEiiiiiiiiiiiliiliiiiil.num_named_barrier, 0
	.set _ZL18flash_attn_ext_vecILi128ELi1EL9ggml_type7ELS0_7ELb1EEvPKcS2_S2_S2_S2_PKiPfP15HIP_vector_typeIfLj2EEffffjfiS6_IjLj3EEiiiiiiiiiiiliiliiiiil.private_seg_size, 0
	.set _ZL18flash_attn_ext_vecILi128ELi1EL9ggml_type7ELS0_7ELb1EEvPKcS2_S2_S2_S2_PKiPfP15HIP_vector_typeIfLj2EEffffjfiS6_IjLj3EEiiiiiiiiiiiliiliiiiil.uses_vcc, 1
	.set _ZL18flash_attn_ext_vecILi128ELi1EL9ggml_type7ELS0_7ELb1EEvPKcS2_S2_S2_S2_PKiPfP15HIP_vector_typeIfLj2EEffffjfiS6_IjLj3EEiiiiiiiiiiiliiliiiiil.uses_flat_scratch, 0
	.set _ZL18flash_attn_ext_vecILi128ELi1EL9ggml_type7ELS0_7ELb1EEvPKcS2_S2_S2_S2_PKiPfP15HIP_vector_typeIfLj2EEffffjfiS6_IjLj3EEiiiiiiiiiiiliiliiiiil.has_dyn_sized_stack, 0
	.set _ZL18flash_attn_ext_vecILi128ELi1EL9ggml_type7ELS0_7ELb1EEvPKcS2_S2_S2_S2_PKiPfP15HIP_vector_typeIfLj2EEffffjfiS6_IjLj3EEiiiiiiiiiiiliiliiiiil.has_recursion, 0
	.set _ZL18flash_attn_ext_vecILi128ELi1EL9ggml_type7ELS0_7ELb1EEvPKcS2_S2_S2_S2_PKiPfP15HIP_vector_typeIfLj2EEffffjfiS6_IjLj3EEiiiiiiiiiiiliiliiiiil.has_indirect_call, 0
	.section	.AMDGPU.csdata,"",@progbits
; Kernel info:
; codeLenInByte = 20004
; TotalNumSgprs: 66
; NumVgprs: 232
; NumAgprs: 0
; TotalNumVgprs: 232
; ScratchSize: 0
; MemoryBound: 0
; FloatMode: 240
; IeeeMode: 1
; LDSByteSize: 1280 bytes/workgroup (compile time only)
; SGPRBlocks: 8
; VGPRBlocks: 28
; NumSGPRsForWavesPerEU: 66
; NumVGPRsForWavesPerEU: 232
; AccumOffset: 232
; Occupancy: 2
; WaveLimiterHint : 0
; COMPUTE_PGM_RSRC2:SCRATCH_EN: 0
; COMPUTE_PGM_RSRC2:USER_SGPR: 2
; COMPUTE_PGM_RSRC2:TRAP_HANDLER: 0
; COMPUTE_PGM_RSRC2:TGID_X_EN: 1
; COMPUTE_PGM_RSRC2:TGID_Y_EN: 1
; COMPUTE_PGM_RSRC2:TGID_Z_EN: 1
; COMPUTE_PGM_RSRC2:TIDIG_COMP_CNT: 1
; COMPUTE_PGM_RSRC3_GFX90A:ACCUM_OFFSET: 57
; COMPUTE_PGM_RSRC3_GFX90A:TG_SPLIT: 0
	.section	.text._ZL18flash_attn_ext_vecILi128ELi2EL9ggml_type7ELS0_7ELb0EEvPKcS2_S2_S2_S2_PKiPfP15HIP_vector_typeIfLj2EEffffjfiS6_IjLj3EEiiiiiiiiiiiliiliiiiil,"axG",@progbits,_ZL18flash_attn_ext_vecILi128ELi2EL9ggml_type7ELS0_7ELb0EEvPKcS2_S2_S2_S2_PKiPfP15HIP_vector_typeIfLj2EEffffjfiS6_IjLj3EEiiiiiiiiiiiliiliiiiil,comdat
	.globl	_ZL18flash_attn_ext_vecILi128ELi2EL9ggml_type7ELS0_7ELb0EEvPKcS2_S2_S2_S2_PKiPfP15HIP_vector_typeIfLj2EEffffjfiS6_IjLj3EEiiiiiiiiiiiliiliiiiil ; -- Begin function _ZL18flash_attn_ext_vecILi128ELi2EL9ggml_type7ELS0_7ELb0EEvPKcS2_S2_S2_S2_PKiPfP15HIP_vector_typeIfLj2EEffffjfiS6_IjLj3EEiiiiiiiiiiiliiliiiiil
	.p2align	8
	.type	_ZL18flash_attn_ext_vecILi128ELi2EL9ggml_type7ELS0_7ELb0EEvPKcS2_S2_S2_S2_PKiPfP15HIP_vector_typeIfLj2EEffffjfiS6_IjLj3EEiiiiiiiiiiiliiliiiiil,@function
_ZL18flash_attn_ext_vecILi128ELi2EL9ggml_type7ELS0_7ELb0EEvPKcS2_S2_S2_S2_PKiPfP15HIP_vector_typeIfLj2EEffffjfiS6_IjLj3EEiiiiiiiiiiiliiliiiiil: ; @_ZL18flash_attn_ext_vecILi128ELi2EL9ggml_type7ELS0_7ELb0EEvPKcS2_S2_S2_S2_PKiPfP15HIP_vector_typeIfLj2EEffffjfiS6_IjLj3EEiiiiiiiiiiiliiliiiiil
; %bb.0:
	s_load_dwordx2 s[34:35], s[2:3], 0x64
	s_load_dwordx2 s[54:55], s[2:3], 0x80
	;; [unrolled: 1-line block ×3, first 2 shown]
	v_mov_b32_e32 v225, 1.0
	s_waitcnt lgkmcnt(0)
	v_cvt_f32_u32_e32 v1, s35
	s_sub_i32 s7, 0, s35
	v_rcp_iflag_f32_e32 v1, v1
	s_nop 0
	v_mul_f32_e32 v1, 0x4f7ffffe, v1
	v_cvt_u32_f32_e32 v1, v1
	s_nop 0
	v_readfirstlane_b32 s8, v1
	s_mul_i32 s7, s7, s8
	s_mul_hi_u32 s7, s8, s7
	s_add_i32 s8, s8, s7
	s_mul_hi_u32 s7, s6, s8
	s_mul_i32 s8, s7, s35
	s_sub_i32 s8, s6, s8
	s_add_i32 s9, s7, 1
	s_sub_i32 s12, s8, s35
	s_cmp_ge_u32 s8, s35
	s_cselect_b32 s7, s9, s7
	s_cselect_b32 s8, s12, s8
	s_add_i32 s9, s7, 1
	s_cmp_ge_u32 s8, s35
	s_cselect_b32 s70, s9, s7
	s_abs_i32 s7, s55
	v_cvt_f32_u32_e32 v1, s7
	s_mul_i32 s12, s70, s35
	s_sub_i32 s13, 0, s7
	s_sub_i32 s36, s6, s12
	v_rcp_iflag_f32_e32 v1, v1
	s_abs_i32 s9, s35
	s_xor_b32 s8, s35, s55
	s_ashr_i32 s8, s8, 31
	v_mul_f32_e32 v1, 0x4f7ffffe, v1
	v_cvt_u32_f32_e32 v1, v1
	s_nop 0
	v_readfirstlane_b32 s6, v1
	s_mul_i32 s13, s13, s6
	s_mul_hi_u32 s12, s6, s13
	s_add_i32 s6, s6, s12
	s_mul_hi_u32 s6, s9, s6
	s_mul_i32 s12, s6, s7
	s_sub_i32 s9, s9, s12
	s_add_i32 s13, s6, 1
	s_sub_i32 s12, s9, s7
	s_cmp_ge_u32 s9, s7
	s_cselect_b32 s6, s13, s6
	s_cselect_b32 s9, s12, s9
	s_add_i32 s12, s6, 1
	s_cmp_ge_u32 s9, s7
	s_cselect_b32 s6, s12, s6
	s_xor_b32 s6, s6, s8
	s_sub_i32 s39, s6, s8
	s_abs_i32 s10, s10
	s_abs_i32 s38, s39
	v_cvt_f32_u32_e32 v1, s10
	v_cvt_f32_u32_e32 v2, s38
	s_load_dwordx4 s[12:15], s[2:3], 0x40
	s_load_dword s6, s[2:3], 0x50
	v_rcp_iflag_f32_e32 v1, v1
	v_rcp_iflag_f32_e32 v2, v2
	s_waitcnt lgkmcnt(0)
	v_cmp_le_f32_e64 s[8:9], s13, 0
	s_and_b64 vcc, exec, s[8:9]
	v_mul_f32_e32 v1, 0x4f7ffffe, v1
	v_mul_f32_e32 v2, 0x4f7ffffe, v2
	v_cvt_u32_f32_e32 v1, v1
	v_cvt_u32_f32_e32 v2, v2
	v_readfirstlane_b32 s40, v1
	v_readfirstlane_b32 s41, v2
	s_cbranch_vccnz .LBB19_2
; %bb.1:
	v_mov_b32_e32 v1, s6
	v_sub_co_u32_e32 v1, vcc, s36, v1
	v_mov_b32_e32 v2, s15
	v_mov_b32_e32 v3, s14
	s_add_i32 s6, s36, 1
	v_lshlrev_b32_e32 v1, 1, v1
	v_cndmask_b32_e32 v2, v2, v3, vcc
	v_or_b32_e32 v1, 1, v1
	v_mov_b32_e32 v3, s6
	v_cndmask_b32_e32 v1, v1, v3, vcc
	v_cvt_f32_i32_e32 v1, v1
	v_cmp_neq_f32_e32 vcc, 1.0, v2
	s_mov_b32 s6, 0x3f2aaaab
	s_movk_i32 s8, 0x204
	v_cndmask_b32_e32 v1, 1.0, v1, vcc
	v_cmp_neq_f32_e32 vcc, 0, v1
	s_mov_b32 s7, 0x42b17218
	s_mov_b32 s9, 0x3fb8aa3b
	v_cndmask_b32_e32 v18, 1.0, v2, vcc
	v_frexp_mant_f32_e64 v2, |v18|
	v_cmp_gt_f32_e32 vcc, s6, v2
	s_mov_b32 s6, 0x3f317218
	s_brev_b32 s16, -2
	v_cndmask_b32_e64 v3, 1.0, 2.0, vcc
	v_mul_f32_e32 v2, v2, v3
	v_add_f32_e32 v5, 1.0, v2
	v_rcp_f32_e32 v10, v5
	v_add_f32_e32 v3, -1.0, v5
	v_sub_f32_e32 v7, v2, v3
	v_add_f32_e32 v3, -1.0, v2
	v_mul_f32_e32 v11, v3, v10
	v_mul_f32_e32 v4, v5, v11
	v_fma_f32 v6, v11, v5, -v4
	v_fmac_f32_e32 v6, v11, v7
	v_add_f32_e32 v2, v4, v6
	v_sub_f32_e32 v5, v3, v2
	v_pk_add_f32 v[8:9], v[2:3], v[4:5] neg_lo:[0,1] neg_hi:[0,1]
	v_mov_b32_e32 v7, v2
	v_pk_add_f32 v[2:3], v[8:9], v[6:7] neg_lo:[0,1] neg_hi:[0,1]
	v_mov_b32_e32 v6, 0x3e91f4c4
	v_add_f32_e32 v2, v2, v3
	v_add_f32_e32 v2, v5, v2
	v_mul_f32_e32 v3, v10, v2
	v_add_f32_e32 v2, v11, v3
	v_sub_f32_e32 v4, v2, v11
	v_sub_f32_e32 v12, v3, v4
	v_mul_f32_e32 v3, v2, v2
	v_fma_f32 v5, v2, v2, -v3
	v_add_f32_e32 v4, v12, v12
	v_fmac_f32_e32 v5, v2, v4
	v_add_f32_e32 v4, v3, v5
	v_fmac_f32_e32 v6, 0x3e76c4e1, v4
	v_fmaak_f32 v6, v4, v6, 0x3ecccdef
	v_sub_f32_e32 v3, v4, v3
	v_sub_f32_e32 v13, v5, v3
	v_mul_f32_e32 v3, v4, v6
	v_fma_f32 v5, v4, v6, -v3
	v_fmac_f32_e32 v5, v13, v6
	v_add_f32_e32 v6, v3, v5
	v_add_f32_e32 v7, 0x3f2aaaaa, v6
	v_sub_f32_e32 v3, v6, v3
	v_sub_f32_e32 v3, v5, v3
	v_add_f32_e32 v5, 0xbf2aaaaa, v7
	v_add_f32_e32 v3, 0x31739010, v3
	v_sub_f32_e32 v5, v6, v5
	v_pk_mul_f32 v[8:9], v[2:3], v[4:5]
	v_pk_add_f32 v[10:11], v[2:3], v[4:5]
	v_fma_f32 v6, v4, v2, -v8
	v_fmac_f32_e32 v6, v4, v12
	v_mov_b32_e32 v9, v11
	v_fmac_f32_e32 v6, v13, v2
	v_pk_add_f32 v[4:5], v[8:9], v[6:7]
	v_ldexp_f32 v14, v12, 1
	v_sub_f32_e32 v3, v4, v8
	v_sub_f32_e32 v3, v6, v3
	;; [unrolled: 1-line block ×3, first 2 shown]
	v_add_f32_e32 v9, v11, v6
	v_pk_mul_f32 v[6:7], v[4:5], v[4:5] op_sel:[0,1] op_sel_hi:[1,0]
	v_cvt_f64_f32_e64 v[10:11], |v18|
	v_frexp_exp_i32_f64_e32 v7, v[10:11]
	v_subbrev_co_u32_e32 v7, vcc, 0, v7, vcc
	v_cvt_f32_i32_e32 v7, v7
	v_fma_f32 v8, v4, v5, -v6
	v_fmac_f32_e32 v8, v4, v9
	v_fmac_f32_e32 v8, v3, v5
	v_mul_f32_e32 v4, 0x3f317218, v7
	v_fma_f32 v3, v7, s6, -v4
	v_fmamk_f32 v10, v7, 0xb102e308, v3
	v_ldexp_f32 v11, v2, 1
	v_add_f32_e32 v5, v6, v8
	v_pk_add_f32 v[2:3], v[4:5], v[10:11]
	v_mov_b32_e32 v12, v5
	v_mov_b32_e32 v13, v3
	;; [unrolled: 1-line block ×3, first 2 shown]
	v_pk_add_f32 v[6:7], v[12:13], v[6:7] neg_lo:[0,1] neg_hi:[0,1]
	v_mov_b32_e32 v9, v5
	v_pk_add_f32 v[6:7], v[8:9], v[6:7] neg_lo:[0,1] neg_hi:[0,1]
	v_mov_b32_e32 v11, v2
	v_add_f32_e32 v5, v14, v6
	v_add_f32_e32 v5, v5, v7
	v_pk_add_f32 v[6:7], v[2:3], v[4:5] neg_lo:[0,1] neg_hi:[0,1]
	v_pk_add_f32 v[8:9], v[2:3], v[4:5]
	v_mov_b32_e32 v16, v3
	v_mov_b32_e32 v7, v9
	v_pk_add_f32 v[12:13], v[10:11], v[6:7] neg_lo:[0,1] neg_hi:[0,1]
	v_pk_add_f32 v[6:7], v[10:11], v[6:7]
	v_mov_b32_e32 v4, v5
	v_pk_add_f32 v[10:11], v[6:7], v[2:3] op_sel:[1,0] op_sel_hi:[0,1] neg_lo:[0,1] neg_hi:[0,1]
	v_pk_add_f32 v[14:15], v[8:9], v[10:11] op_sel_hi:[1,0] neg_lo:[0,1] neg_hi:[0,1]
	v_mov_b32_e32 v8, v9
	v_mov_b32_e32 v9, v7
	;; [unrolled: 1-line block ×3, first 2 shown]
	v_pk_add_f32 v[8:9], v[8:9], v[16:17] neg_lo:[0,1] neg_hi:[0,1]
	v_mov_b32_e32 v5, v2
	v_pk_add_f32 v[2:3], v[4:5], v[8:9] neg_lo:[0,1] neg_hi:[0,1]
	v_mov_b32_e32 v14, v12
	v_pk_add_f32 v[4:5], v[14:15], v[2:3]
	v_mov_b32_e32 v13, v7
	v_pk_add_f32 v[8:9], v[4:5], v[4:5] op_sel:[0,1] op_sel_hi:[1,0]
	s_mov_b32 s6, 0x7f800000
	v_pk_add_f32 v[6:7], v[6:7], v[8:9] op_sel:[1,0] op_sel_hi:[0,1]
	v_mov_b32_e32 v5, v6
	v_pk_add_f32 v[10:11], v[4:5], v[12:13] neg_lo:[0,1] neg_hi:[0,1]
	v_mov_b32_e32 v3, v8
	v_sub_f32_e32 v4, v4, v10
	v_pk_add_f32 v[2:3], v[2:3], v[10:11] neg_lo:[0,1] neg_hi:[0,1]
	v_sub_f32_e32 v4, v12, v4
	v_add_f32_e32 v2, v2, v4
	v_add_f32_e32 v2, v2, v3
	;; [unrolled: 1-line block ×3, first 2 shown]
	v_sub_f32_e32 v4, v3, v6
	v_sub_f32_e32 v2, v2, v4
	v_mul_f32_e32 v4, v1, v3
	v_fma_f32 v3, v1, v3, -v4
	v_fmac_f32_e32 v3, v1, v2
	v_add_f32_e32 v2, v4, v3
	v_cmp_class_f32_e64 vcc, v4, s8
	v_sub_f32_e32 v5, v2, v4
	v_sub_f32_e32 v3, v3, v5
	v_cndmask_b32_e32 v2, v2, v4, vcc
	v_mov_b32_e32 v4, 0x37000000
	v_cmp_eq_f32_e32 vcc, s7, v2
	v_cmp_class_f32_e64 s[14:15], v18, s8
	s_nop 0
	v_cndmask_b32_e32 v4, 0, v4, vcc
	v_sub_f32_e32 v5, v2, v4
	v_mul_f32_e32 v6, 0x3fb8aa3b, v5
	v_fma_f32 v7, v5, s9, -v6
	v_rndne_f32_e32 v8, v6
	v_fmamk_f32 v7, v5, 0x32a5705f, v7
	v_sub_f32_e32 v6, v6, v8
	v_add_f32_e32 v6, v6, v7
	v_exp_f32_e32 v6, v6
	v_cvt_i32_f32_e32 v7, v8
	v_cmp_neq_f32_e64 vcc, |v2|, s6
	s_mov_b32 s6, 0xc2ce8ed0
	s_nop 0
	v_cndmask_b32_e32 v2, 0, v3, vcc
	v_ldexp_f32 v3, v6, v7
	v_cmp_ngt_f32_e32 vcc, s6, v5
	v_add_f32_e32 v2, v4, v2
	v_mov_b32_e32 v4, 0x7f800000
	v_cndmask_b32_e32 v3, 0, v3, vcc
	v_cmp_nlt_f32_e32 vcc, s7, v5
	v_mov_b32_e32 v5, 0x7fc00000
	s_nop 0
	v_cndmask_b32_e32 v3, v4, v3, vcc
	v_fma_f32 v2, v3, v2, v3
	v_cmp_class_f32_e64 vcc, v3, s8
	v_cmp_gt_f32_e64 s[8:9], 0, v1
	s_nop 0
	v_cndmask_b32_e32 v2, v2, v3, vcc
	v_trunc_f32_e32 v3, v1
	v_cmp_eq_f32_e32 vcc, v3, v1
	v_mul_f32_e32 v3, 0.5, v1
	v_trunc_f32_e32 v6, v3
	v_cmp_neq_f32_e64 s[6:7], v6, v3
	s_and_b64 s[6:7], vcc, s[6:7]
	s_nop 0
	v_cndmask_b32_e64 v3, 1.0, v18, s[6:7]
	v_bfi_b32 v2, s16, v2, v3
	v_cndmask_b32_e32 v3, v5, v2, vcc
	v_cmp_gt_f32_e32 vcc, 0, v18
	s_nop 1
	v_cndmask_b32_e32 v2, v2, v3, vcc
	v_cmp_eq_f32_e32 vcc, 0, v18
	s_xor_b64 s[8:9], s[8:9], vcc
	v_cndmask_b32_e64 v1, v4, 0, s[8:9]
	v_cndmask_b32_e64 v3, 0, v18, s[6:7]
	v_bfi_b32 v1, s16, v1, v3
	s_or_b64 vcc, vcc, s[14:15]
	v_cndmask_b32_e32 v1, v2, v1, vcc
	v_cmp_o_f32_e32 vcc, v18, v18
	s_nop 1
	v_cndmask_b32_e32 v225, v5, v1, vcc
.LBB19_2:
	s_load_dwordx2 s[6:7], s[0:1], 0x4
	s_load_dwordx16 s[16:31], s[2:3], 0x0
	v_bfe_u32 v219, v0, 10, 10
	v_and_b32_e32 v218, 0x3ff, v0
	v_bfe_u32 v0, v0, 20, 10
	s_waitcnt lgkmcnt(0)
	s_lshr_b32 s0, s6, 16
	v_mul_u32_u24_e32 v1, s7, v219
	s_mul_i32 s0, s0, s7
	v_mad_u32_u24 v1, s0, v218, v1
	v_add_lshl_u32 v16, v1, v0, 4
	v_mov_b32_e32 v59, 0
	v_add_u32_e32 v0, 0x604, v16
	s_lshl_b32 s33, s4, 1
	ds_write2_b32 v0, v59, v59 offset1:1
	v_add_u32_e32 v0, 0x400, v16
	v_cmp_lt_u32_e64 s[0:1], 1, v219
	v_cmp_gt_u32_e32 vcc, 2, v219
	v_lshlrev_b32_e32 v220, 8, v219
	v_lshlrev_b32_e32 v224, 2, v218
	ds_write2_b32 v0, v59, v59 offset0:128 offset1:131
	s_and_saveexec_b64 s[6:7], vcc
	s_cbranch_execz .LBB19_13
; %bb.3:
	v_or_b32_e32 v0, s33, v219
	v_cmp_le_i32_e32 vcc, s34, v0
	v_add_u32_e32 v4, v220, v224
	s_and_saveexec_b64 s[8:9], vcc
	s_xor_b64 s[8:9], exec, s[8:9]
	s_cbranch_execz .LBB19_7
; %bb.4:
	v_cmp_gt_u32_e32 vcc, 4, v218
	v_mov_b32_e32 v0, 0
	ds_write_b32 v4, v0
	s_and_saveexec_b64 s[14:15], vcc
; %bb.5:
	v_add_u32_e32 v2, v4, v224
	v_mov_b32_e32 v1, v0
	ds_write_b64 v2, v[0:1] offset:128
; %bb.6:
	s_or_b64 exec, exec, s[14:15]
                                        ; implicit-def: $vgpr4
.LBB19_7:
	s_andn2_saveexec_b64 s[8:9], s[8:9]
	s_cbranch_execz .LBB19_13
; %bb.8:
	s_load_dwordx4 s[44:47], s[2:3], 0x70
	v_lshlrev_b32_e32 v2, 2, v224
	v_mov_b32_e32 v3, 0
	s_waitcnt lgkmcnt(0)
	s_mul_i32 s8, s70, s46
	s_mul_i32 s14, s44, s33
	;; [unrolled: 1-line block ×3, first 2 shown]
	s_add_i32 s8, s8, s14
	s_add_i32 s8, s8, s9
	s_ashr_i32 s9, s8, 31
	v_mul_lo_u32 v0, s44, v219
	s_add_u32 s8, s16, s8
	v_ashrrev_i32_e32 v1, 31, v0
	s_addc_u32 s9, s17, s9
	v_lshl_add_u64 v[0:1], s[8:9], 0, v[0:1]
	v_lshl_add_u64 v[0:1], v[0:1], 0, v[2:3]
	global_load_dwordx4 v[10:13], v[0:1], off
	v_mbcnt_lo_u32_b32 v0, -1, 0
	v_mbcnt_hi_u32_b32 v2, -1, v0
	v_and_b32_e32 v0, 0x60, v2
	v_xor_b32_e32 v1, 4, v2
	v_add_u32_e32 v9, 32, v0
	v_xor_b32_e32 v5, 2, v2
	v_cmp_lt_i32_e32 vcc, v1, v9
	v_xor_b32_e32 v6, 1, v2
	s_waitcnt vmcnt(0)
	v_mul_f32_e32 v8, s12, v10
	v_cndmask_b32_e32 v0, v2, v1, vcc
	v_cmp_lt_i32_e32 vcc, v5, v9
	v_mul_f32_e32 v7, s12, v12
	s_nop 0
	v_cndmask_b32_e32 v1, v2, v5, vcc
	v_lshlrev_b32_e32 v5, 2, v0
	v_lshlrev_b32_e32 v14, 2, v1
	v_mov_b32_e32 v0, v13
	v_mov_b32_e32 v1, v11
	v_pk_mul_f32 v[0:1], s[12:13], v[0:1] op_sel_hi:[0,1]
	v_max_f32_e64 v11, |v8|, |v1|
	v_max3_f32 v11, v11, |v7|, |v0|
	ds_bpermute_b32 v13, v5, v11
	v_fma_f32 v10, s12, v10, v1
	v_fmac_f32_e32 v10, s12, v12
	v_add_f32_e32 v10, v10, v0
	ds_bpermute_b32 v5, v5, v10
	s_waitcnt lgkmcnt(1)
	v_max_f32_e32 v12, v13, v13
	v_max_f32_e32 v11, v11, v12
	ds_bpermute_b32 v12, v14, v11
	v_cmp_lt_i32_e32 vcc, v6, v9
	s_waitcnt lgkmcnt(1)
	v_add_f32_e32 v5, v10, v5
	s_mov_b32 s12, 0x42fe0000
	v_cndmask_b32_e32 v2, v2, v6, vcc
	s_waitcnt lgkmcnt(0)
	v_max_f32_e32 v9, v12, v12
	v_lshlrev_b32_e32 v2, 2, v2
	v_max_f32_e32 v9, v11, v9
	ds_bpermute_b32 v6, v14, v5
	ds_bpermute_b32 v10, v2, v9
	s_waitcnt lgkmcnt(1)
	v_add_f32_e32 v5, v5, v6
	s_waitcnt lgkmcnt(0)
	v_max_f32_e32 v6, v10, v10
	v_max_f32_e32 v9, v9, v6
	v_div_scale_f32 v10, s[8:9], s12, s12, v9
	v_rcp_f32_e32 v11, v10
	ds_bpermute_b32 v6, v2, v5
	v_div_scale_f32 v2, vcc, v9, s12, v9
	v_fma_f32 v12, -v10, v11, 1.0
	v_fmac_f32_e32 v11, v12, v11
	v_mul_f32_e32 v12, v2, v11
	v_fma_f32 v13, -v10, v12, v2
	v_fmac_f32_e32 v12, v13, v11
	v_fma_f32 v2, -v10, v12, v2
	v_div_fmas_f32 v2, v2, v11, v12
	v_div_fixup_f32 v2, v2, s12, v9
	v_cmp_neq_f32_e32 vcc, 0, v2
	s_and_saveexec_b64 s[8:9], vcc
	s_cbranch_execz .LBB19_10
; %bb.9:
	v_div_scale_f32 v3, s[12:13], v2, v2, v8
	v_rcp_f32_e32 v9, v3
	v_div_scale_f32 v10, vcc, v8, v2, v8
	s_brev_b32 s14, -2
	v_fma_f32 v11, -v3, v9, 1.0
	v_fmac_f32_e32 v9, v11, v9
	v_mul_f32_e32 v11, v10, v9
	v_fma_f32 v12, -v3, v11, v10
	v_fmac_f32_e32 v11, v12, v9
	v_fma_f32 v3, -v3, v11, v10
	v_div_fmas_f32 v3, v3, v9, v11
	v_div_fixup_f32 v3, v3, v2, v8
	v_trunc_f32_e32 v8, v3
	v_sub_f32_e32 v9, v3, v8
	v_cmp_ge_f32_e64 s[12:13], |v9|, 0.5
	s_nop 1
	v_cndmask_b32_e64 v9, 0, 1.0, s[12:13]
	v_div_scale_f32 v10, s[12:13], v2, v2, v0
	v_rcp_f32_e32 v11, v10
	v_bfi_b32 v3, s14, v9, v3
	v_add_f32_e32 v3, v8, v3
	v_cvt_i32_f32_e32 v3, v3
	v_fma_f32 v8, -v10, v11, 1.0
	v_fmac_f32_e32 v11, v8, v11
	v_div_scale_f32 v8, vcc, v0, v2, v0
	v_mul_f32_e32 v9, v8, v11
	v_fma_f32 v12, -v10, v9, v8
	v_fmac_f32_e32 v9, v12, v11
	v_div_scale_f32 v12, s[12:13], v2, v2, v1
	v_rcp_f32_e32 v13, v12
	v_fma_f32 v8, -v10, v9, v8
	v_div_fmas_f32 v8, v8, v11, v9
	v_div_fixup_f32 v0, v8, v2, v0
	v_fma_f32 v9, -v12, v13, 1.0
	v_fmac_f32_e32 v13, v9, v13
	v_div_scale_f32 v9, vcc, v1, v2, v1
	v_mul_f32_e32 v10, v9, v13
	v_fma_f32 v11, -v12, v10, v9
	v_fmac_f32_e32 v10, v11, v13
	v_div_scale_f32 v11, s[12:13], v2, v2, v7
	v_rcp_f32_e32 v14, v11
	v_fma_f32 v9, -v12, v10, v9
	v_div_fmas_f32 v9, v9, v13, v10
	v_div_fixup_f32 v1, v9, v2, v1
	v_fma_f32 v10, -v11, v14, 1.0
	v_fmac_f32_e32 v14, v10, v14
	v_div_scale_f32 v10, vcc, v7, v2, v7
	v_mul_f32_e32 v12, v10, v14
	v_fma_f32 v13, -v11, v12, v10
	v_fmac_f32_e32 v12, v13, v14
	v_fma_f32 v10, -v11, v12, v10
	v_div_fmas_f32 v10, v10, v14, v12
	v_div_fixup_f32 v7, v10, v2, v7
	v_trunc_f32_e32 v10, v7
	v_sub_f32_e32 v11, v7, v10
	v_trunc_f32_e32 v8, v1
	v_cmp_ge_f32_e64 s[12:13], |v11|, 0.5
	v_sub_f32_e32 v9, v1, v8
	v_and_b32_e32 v3, 0xff, v3
	v_cndmask_b32_e64 v11, 0, 1.0, s[12:13]
	v_cmp_ge_f32_e64 s[12:13], |v9|, 0.5
	v_bfi_b32 v7, s14, v11, v7
	v_add_f32_e32 v7, v10, v7
	v_cndmask_b32_e64 v9, 0, 1.0, s[12:13]
	v_bfi_b32 v1, s14, v9, v1
	v_add_f32_e32 v1, v8, v1
	v_trunc_f32_e32 v8, v0
	v_sub_f32_e32 v9, v0, v8
	v_cmp_ge_f32_e64 s[12:13], |v9|, 0.5
	v_cvt_i32_f32_e32 v7, v7
	v_cvt_i32_f32_e32 v1, v1
	v_cndmask_b32_e64 v9, 0, 1.0, s[12:13]
	v_bfi_b32 v0, s14, v9, v0
	v_add_f32_e32 v0, v8, v0
	v_cvt_i32_f32_e32 v0, v0
	v_and_b32_e32 v7, 0xff, v7
	v_lshlrev_b32_e32 v7, 16, v7
	v_mov_b32_e32 v8, 8
	v_lshlrev_b32_sdwa v1, v8, v1 dst_sel:DWORD dst_unused:UNUSED_PAD src0_sel:DWORD src1_sel:BYTE_0
	v_lshl_or_b32 v0, v0, 24, v7
	v_or3_b32 v3, v0, v1, v3
.LBB19_10:
	s_or_b64 exec, exec, s[8:9]
	v_and_b32_e32 v0, 7, v218
	v_cmp_eq_u32_e32 vcc, 0, v0
	ds_write_b32 v4, v3
	s_and_saveexec_b64 s[8:9], vcc
	s_cbranch_execz .LBB19_12
; %bb.11:
	s_waitcnt lgkmcnt(1)
	v_add_f32_e32 v3, v5, v6
	v_add_u32_e32 v0, v220, v218
	ds_write_b64 v0, v[2:3] offset:128
.LBB19_12:
	s_or_b64 exec, exec, s[8:9]
.LBB19_13:
	s_or_b64 exec, exec, s[6:7]
	v_and_b32_e32 v71, 3, v218
	v_lshlrev_b32_e32 v40, 2, v71
	s_waitcnt lgkmcnt(0)
	s_barrier
	ds_read2_b32 v[42:43], v40 offset1:4
	ds_read2_b32 v[44:45], v40 offset0:8 offset1:12
	ds_read_b128 v[0:3], v59 offset:128
	ds_read_b128 v[4:7], v59 offset:144
	ds_read2_b32 v[46:47], v40 offset0:16 offset1:20
	ds_read2_b32 v[48:49], v40 offset0:24 offset1:28
	;; [unrolled: 1-line block ×5, first 2 shown]
	ds_read_b128 v[8:11], v59 offset:384
	ds_read_b128 v[12:15], v59 offset:400
	ds_read2_b32 v[56:57], v40 offset0:88 offset1:92
	s_cmp_eq_u64 s[26:27], 0
	s_mov_b32 s37, s54
	s_waitcnt lgkmcnt(0)
	s_barrier
	s_cbranch_scc1 .LBB19_15
; %bb.14:
	s_load_dword s6, s[2:3], 0xd0
	s_mov_b32 s7, 0
	s_waitcnt lgkmcnt(0)
	s_mul_i32 s6, s6, s70
	s_add_i32 s6, s6, s4
	s_lshl_b64 s[6:7], s[6:7], 2
	s_add_u32 s6, s26, s6
	s_addc_u32 s7, s27, s7
	s_load_dword s37, s[6:7], 0x0
.LBB19_15:
	v_lshlrev_b32_e32 v70, 5, v219
	v_add_u32_e32 v221, v70, v218
	s_lshl_b32 s26, s5, 7
	v_add_u32_e32 v223, 0x600, v16
	s_waitcnt lgkmcnt(0)
	s_cmp_ge_i32 s26, s37
	v_mbcnt_lo_u32_b32 v226, -1, 0
	v_lshlrev_b32_e32 v222, 1, v221
	s_cbranch_scc1 .LBB19_35
; %bb.16:
	s_sub_i32 s4, 0, s38
	s_sub_i32 s6, 0, s10
	s_load_dwordx2 s[58:59], s[2:3], 0x8c
	s_load_dwordx4 s[12:15], s[2:3], 0x98
	s_mul_i32 s4, s4, s41
	s_mul_i32 s6, s6, s40
	s_mul_hi_u32 s4, s41, s4
	s_mul_hi_u32 s6, s40, s6
	s_abs_i32 s7, s36
	s_add_i32 s41, s41, s4
	s_abs_i32 s9, s70
	s_add_i32 s40, s40, s6
	s_mul_hi_u32 s6, s7, s41
	s_mul_hi_u32 s27, s9, s40
	s_ashr_i32 s40, s36, 31
	s_ashr_i32 s39, s39, 31
	;; [unrolled: 1-line block ×3, first 2 shown]
	s_waitcnt lgkmcnt(0)
	s_mul_i32 s13, s13, s70
	s_mul_i32 s71, s12, s8
	s_xor_b32 s39, s40, s39
	s_mul_i32 s40, s6, s38
	s_mul_hi_u32 s4, s12, s70
	s_add_i32 s71, s71, s13
	s_sub_i32 s7, s7, s40
	s_add_i32 s4, s71, s4
	s_add_i32 s40, s6, 1
	s_sub_i32 s41, s7, s38
	s_cmp_ge_u32 s7, s38
	s_cselect_b32 s6, s40, s6
	s_cselect_b32 s7, s41, s7
	s_add_i32 s40, s6, 1
	s_cmp_ge_u32 s7, s38
	s_cselect_b32 s6, s40, s6
	s_xor_b32 s6, s6, s39
	s_sub_i32 s6, s6, s39
	s_mul_i32 s27, s27, s10
	s_mul_i32 s56, s6, s59
	;; [unrolled: 1-line block ×3, first 2 shown]
	s_sub_i32 s6, s9, s27
	s_ashr_i32 s57, s56, 31
	s_ashr_i32 s61, s60, 31
	s_sub_i32 s7, s6, s10
	s_cmp_ge_u32 s6, s10
	s_cselect_b32 s6, s7, s6
	s_sub_i32 s7, s6, s10
	s_load_dwordx2 s[16:17], s[2:3], 0xc8
	s_cmp_ge_u32 s6, s10
	s_cselect_b32 s6, s7, s6
	s_xor_b32 s6, s6, s8
	s_sub_i32 s9, s6, s8
	s_ashr_i32 s10, s9, 31
	s_load_dword s15, s[2:3], 0xd4
	s_load_dwordx2 s[6:7], s[2:3], 0xa8
	s_waitcnt lgkmcnt(0)
	s_mul_i32 s10, s16, s10
	s_mul_hi_u32 s27, s16, s9
	s_add_i32 s10, s27, s10
	s_mul_i32 s17, s17, s9
	s_mul_i32 s38, s11, s33
	s_add_i32 s48, s10, s17
	s_ashr_i32 s39, s38, 31
	s_cmp_lg_u64 s[22:23], 0
	s_cselect_b64 s[10:11], -1, 0
	s_lshl_b32 s40, s15, 7
	s_cmp_lt_i32 s33, s34
	s_mul_i32 s9, s16, s9
	s_cselect_b64 s[16:17], -1, 0
	s_and_b64 s[42:43], s[10:11], s[16:17]
	s_or_b32 s15, s33, 1
	s_cmp_lt_i32 s15, s34
	s_cselect_b64 s[16:17], -1, 0
	s_and_b64 s[44:45], s[10:11], s[16:17]
	s_ashr_i32 s55, s54, 31
	s_mov_b32 s27, 0
	s_add_u32 s62, s18, s56
	s_addc_u32 s63, s19, s57
	s_lshl_b64 s[10:11], s[26:27], 1
	s_add_u32 s15, s22, s10
	s_addc_u32 s16, s23, s11
	s_mov_b32 s41, s27
	s_add_u32 s66, s15, s9
	s_addc_u32 s67, s16, s48
	s_lshl_b64 s[46:47], s[40:41], 1
	s_add_u32 s9, s9, s10
	s_addc_u32 s10, s48, s11
	v_mul_lo_u32 v20, v70, s14
	s_add_u32 s68, s22, s9
	s_mul_i32 s13, s12, s70
	v_bfe_u32 v16, v218, 3, 27
	v_add_u32_e32 v24, s14, v20
	s_addc_u32 s69, s23, s10
	v_add_u32_e32 v30, s14, v24
	v_mov_b32_e32 v88, s70
	s_add_u32 s64, s62, s13
	v_mul_hi_u32_u24_e32 v17, 24, v16
	v_mul_u32_u24_e32 v16, 24, v16
	s_mul_i32 s7, s7, s70
	s_mul_i32 s8, s6, s8
	v_add_u32_e32 v34, s14, v30
	s_addc_u32 s65, s63, s4
	s_add_i32 s8, s8, s7
	v_mad_u64_u32 v[22:23], s[6:7], s6, v88, v[16:17]
	v_mov_b32_e32 v41, 0
	v_add_u32_e32 v38, s14, v34
	v_add_u32_e32 v23, s8, v23
	;; [unrolled: 1-line block ×3, first 2 shown]
	v_lshl_add_u64 v[26:27], v[22:23], 0, v[40:41]
	v_ashrrev_i32_e32 v73, 31, v72
	v_lshl_add_u64 v[64:65], v[22:23], 0, s[60:61]
	v_lshl_add_u64 v[68:69], v[26:27], 0, s[60:61]
	v_add_u32_e32 v74, s14, v72
	v_lshl_add_u64 v[58:59], v[64:65], 0, v[72:73]
	v_lshl_add_u64 v[98:99], v[68:69], 0, v[72:73]
	v_add_u32_e32 v72, 31, v70
	v_mul_lo_u32 v72, s14, v72
	v_ashrrev_i32_e32 v73, 31, v72
	v_lshl_add_u64 v[122:123], v[68:69], 0, v[72:73]
	v_lshl_add_u64 v[126:127], v[64:65], 0, v[72:73]
	v_add_u32_e32 v72, 30, v70
	v_mul_lo_u32 v72, s14, v72
	v_ashrrev_i32_e32 v73, 31, v72
	v_lshl_add_u64 v[128:129], v[68:69], 0, v[72:73]
	v_lshl_add_u64 v[132:133], v[64:65], 0, v[72:73]
	v_add_u32_e32 v72, 29, v70
	v_mul_lo_u32 v72, s14, v72
	v_add_u32_e32 v76, s14, v74
	v_ashrrev_i32_e32 v73, 31, v72
	v_add_u32_e32 v78, s14, v76
	v_lshl_add_u64 v[134:135], v[68:69], 0, v[72:73]
	v_lshl_add_u64 v[138:139], v[64:65], 0, v[72:73]
	v_add_u32_e32 v72, 28, v70
	v_add_u32_e32 v80, s14, v78
	v_mul_lo_u32 v72, s14, v72
	v_add_u32_e32 v82, s14, v80
	v_ashrrev_i32_e32 v73, 31, v72
	v_add_u32_e32 v84, s14, v82
	v_lshl_add_u64 v[140:141], v[68:69], 0, v[72:73]
	v_lshl_add_u64 v[144:145], v[64:65], 0, v[72:73]
	v_add_u32_e32 v72, 27, v70
	;; [unrolled: 8-line block ×3, first 2 shown]
	v_add_u32_e32 v60, s14, v62
	v_mul_lo_u32 v72, s14, v72
	v_ashrrev_i32_e32 v67, 31, v66
	v_ashrrev_i32_e32 v63, 31, v62
	v_ashrrev_i32_e32 v61, 31, v60
	v_ashrrev_i32_e32 v73, 31, v72
	v_add_u32_e32 v28, s14, v60
	v_lshl_add_u64 v[152:153], v[68:69], 0, v[72:73]
	v_lshl_add_u64 v[156:157], v[64:65], 0, v[72:73]
	v_add_u32_e32 v72, 25, v70
	v_lshl_add_u64 v[160:161], v[64:65], 0, v[66:67]
	v_lshl_add_u64 v[166:167], v[68:69], 0, v[66:67]
	;; [unrolled: 3-line block ×4, first 2 shown]
	v_add_u32_e32 v60, 19, v70
	v_mul_lo_u32 v72, s14, v72
	v_mul_lo_u32 v66, s14, v66
	;; [unrolled: 1-line block ×4, first 2 shown]
	v_add_u32_e32 v18, s14, v28
	v_ashrrev_i32_e32 v73, 31, v72
	v_ashrrev_i32_e32 v67, 31, v66
	;; [unrolled: 1-line block ×4, first 2 shown]
	v_lshl_add_u64 v[158:159], v[68:69], 0, v[72:73]
	v_lshl_add_u64 v[162:163], v[64:65], 0, v[72:73]
	v_add_u32_e32 v72, 24, v70
	v_lshl_add_u64 v[170:171], v[68:69], 0, v[66:67]
	v_lshl_add_u64 v[174:175], v[64:65], 0, v[66:67]
	v_add_u32_e32 v66, 22, v70
	;; [unrolled: 3-line block ×4, first 2 shown]
	v_mul_lo_u32 v72, s14, v72
	v_mul_lo_u32 v66, s14, v66
	;; [unrolled: 1-line block ×3, first 2 shown]
	v_ashrrev_i32_e32 v61, 31, v60
	v_ashrrev_i32_e32 v21, 31, v20
	;; [unrolled: 1-line block ×18, first 2 shown]
	v_lshl_add_u64 v[200:201], v[68:69], 0, v[60:61]
	v_lshl_add_u64 v[204:205], v[64:65], 0, v[60:61]
	v_mbcnt_hi_u32_b32 v60, -1, v226
	v_lshl_add_u64 v[16:17], v[22:23], 0, v[20:21]
	v_lshl_add_u64 v[20:21], v[26:27], 0, v[20:21]
	;; [unrolled: 1-line block ×19, first 2 shown]
	v_and_b32_e32 v65, 0x7c, v60
	v_lshl_add_u64 v[176:177], v[68:69], 0, v[66:67]
	v_add_u32_e32 v65, 4, v65
	v_xor_b32_e32 v67, 2, v60
	v_and_b32_e32 v61, 0x60, v60
	v_xor_b32_e32 v66, 1, v60
	v_cmp_lt_i32_e32 vcc, v67, v65
	v_lshl_add_u64 v[188:189], v[68:69], 0, v[62:63]
	v_add_u32_e32 v61, 32, v61
	v_xor_b32_e32 v62, 4, v60
	v_cndmask_b32_e32 v67, v60, v67, vcc
	v_cmp_lt_i32_e32 vcc, v66, v65
	v_xor_b32_e32 v63, 8, v60
	s_mul_i32 s22, s14, s26
	v_cndmask_b32_e32 v65, v60, v66, vcc
	v_cmp_lt_i32_e32 vcc, v62, v61
	s_mul_i32 s52, s40, s14
	v_mad_u64_u32 v[104:105], s[14:15], s12, v88, v[40:41]
	v_xor_b32_e32 v64, 16, v60
	v_cndmask_b32_e32 v66, v60, v62, vcc
	v_cmp_lt_i32_e32 vcc, v63, v61
	s_add_u32 s14, s20, s60
	v_cmp_eq_u32_e64 s[16:17], 0, v71
	v_cmp_eq_u32_e64 s[6:7], 1, v71
	;; [unrolled: 1-line block ×4, first 2 shown]
	v_cndmask_b32_e32 v71, v60, v63, vcc
	v_cmp_lt_i32_e32 vcc, v64, v61
	v_and_b32_e32 v61, 0x7c, v218
	s_addc_u32 s15, s21, s61
	v_cndmask_b32_e32 v60, v60, v64, vcc
	v_add_u32_e32 v64, v70, v61
	v_lshl_add_u64 v[16:17], s[14:15], 0, v[16:17]
	v_lshl_add_u64 v[24:25], v[68:69], 0, v[24:25]
	;; [unrolled: 1-line block ×3, first 2 shown]
	v_mul_lo_u32 v118, v64, s58
	v_lshl_add_u64 v[72:73], v[16:17], 0, 4
	v_lshl_add_u64 v[16:17], s[14:15], 0, v[20:21]
	;; [unrolled: 1-line block ×4, first 2 shown]
	v_add_u32_e32 v100, s58, v118
	v_lshl_add_u64 v[74:75], v[16:17], 0, 8
	v_lshl_add_u64 v[16:17], s[20:21], 0, v[24:25]
	;; [unrolled: 1-line block ×3, first 2 shown]
	v_ashrrev_i32_e32 v101, 31, v100
	v_add_u32_e32 v105, s71, v105
	v_lshl_add_u64 v[78:79], v[16:17], 0, 8
	v_lshl_add_u64 v[16:17], s[20:21], 0, v[30:31]
	;; [unrolled: 1-line block ×13, first 2 shown]
	v_add_u32_e32 v82, s58, v100
	v_lshl_add_u64 v[94:95], v[16:17], 0, 8
	v_lshl_add_u64 v[16:17], s[20:21], 0, v[98:99]
	;; [unrolled: 1-line block ×5, first 2 shown]
	v_ashrrev_i32_e32 v119, 31, v118
	v_add_u32_e32 v68, s58, v82
	v_lshl_add_u64 v[98:99], v[16:17], 0, 8
	v_lshl_add_u64 v[16:17], v[104:105], 0, s[56:57]
	v_ashrrev_i32_e32 v83, 31, v82
	v_ashrrev_i32_e32 v69, 31, v68
	v_lshl_add_u64 v[16:17], v[16:17], 0, v[118:119]
	v_lshlrev_b32_e32 v230, 2, v71
	v_lshlrev_b32_e32 v231, 2, v60
	;; [unrolled: 1-line block ×3, first 2 shown]
	v_lshl_add_u64 v[60:61], v[104:105], 0, v[68:69]
	v_lshl_add_u64 v[70:71], v[104:105], 0, v[82:83]
	;; [unrolled: 1-line block ×82, first 2 shown]
	s_add_u32 s12, s13, s56
	v_lshl_add_u64 v[208:209], v[16:17], 0, 4
	ds_read_b128 v[16:19], v223
	s_addc_u32 s4, s4, s57
	v_lshlrev_b32_e32 v228, 2, v65
	v_add_u32_e32 v62, s54, v64
	v_mov_b32_e32 v65, v41
	s_add_u32 s12, s18, s12
	v_lshlrev_b32_e32 v227, 2, v67
	v_ashrrev_i32_e32 v63, 31, v62
	v_lshlrev_b32_e32 v229, 2, v66
	v_lshl_add_u64 v[66:67], s[54:55], 0, v[64:65]
	v_lshlrev_b32_e32 v64, 1, v64
	s_addc_u32 s13, s19, s4
	v_and_b32_e32 v233, 28, v224
	s_mov_b32 s23, s27
	s_mul_i32 s48, s58, s26
	s_mov_b32 s49, s27
	s_mul_i32 s50, s40, s58
	s_mov_b32 s51, s27
	s_mov_b32 s53, s27
	v_lshl_add_u64 v[60:61], s[62:63], 0, v[60:61]
	v_lshl_add_u64 v[62:63], v[62:63], 1, s[66:67]
	;; [unrolled: 1-line block ×26, first 2 shown]
	s_movk_i32 s4, 0x1000
	s_mov_b32 s18, 0x3fb8aa3b
	s_mov_b32 s19, 0xc2ce8ed0
	;; [unrolled: 1-line block ×4, first 2 shown]
	v_mov_b32_e32 v58, v41
	v_mov_b32_e32 v59, v41
	;; [unrolled: 1-line block ×4, first 2 shown]
	v_or_b32_e32 v41, 16, v40
	v_and_b32_e32 v234, 4, v218
	v_or_b32_e32 v235, 1, v233
	v_or_b32_e32 v236, 2, v233
	;; [unrolled: 1-line block ×3, first 2 shown]
	v_mov_b32_e32 v29, 0xfeffffff
	v_mov_b32_e32 v238, 0x7f800000
	;; [unrolled: 1-line block ×4, first 2 shown]
.LBB19_17:                              ; =>This Inner Loop Header: Depth=1
	v_lshl_add_u64 v[20:21], v[118:119], 0, s[48:49]
	v_lshl_add_u64 v[22:23], v[104:105], 0, s[48:49]
	global_load_dword v34, v[22:23], off offset:8
	global_load_dwordx2 v[24:25], v[20:21], off
	global_load_dword v35, v[22:23], off offset:32
	global_load_dwordx2 v[30:31], v[20:21], off offset:24
	global_load_dword v36, v[22:23], off offset:56
	global_load_dwordx2 v[32:33], v[20:21], off offset:48
	global_load_dword v213, v[22:23], off offset:80
	s_nop 0
	global_load_dwordx2 v[20:21], v[20:21], off offset:72
	s_and_b64 vcc, exec, s[42:43]
	s_waitcnt vmcnt(7)
	v_and_b32_e32 v37, 0xf0f0f0f, v34
	s_waitcnt vmcnt(6)
	v_ashrrev_i32_e32 v39, v41, v25
	v_ashrrev_i32_e32 v38, v40, v25
	s_waitcnt vmcnt(4)
	v_ashrrev_i32_e32 v214, v40, v31
	v_ashrrev_i32_e32 v31, v41, v31
	s_waitcnt vmcnt(2)
	v_ashrrev_i32_e32 v215, v40, v33
	v_cvt_f32_f16_e32 v26, v24
	v_cvt_f32_f16_sdwa v27, v24 dst_sel:DWORD dst_unused:UNUSED_PAD src0_sel:WORD_1
	v_lshrrev_b32_e32 v34, 4, v34
	v_cvt_f32_f16_e32 v24, v30
	v_cvt_f32_f16_sdwa v25, v30 dst_sel:DWORD dst_unused:UNUSED_PAD src0_sel:WORD_1
	v_lshrrev_b32_e32 v30, 4, v35
	v_lshlrev_b32_e32 v240, 4, v39
	v_lshlrev_b32_e32 v241, 11, v39
	;; [unrolled: 1-line block ×12, first 2 shown]
	v_and_b32_e32 v212, 0xf0f0f0f, v35
	v_and_b32_e32 v35, 0xf0f0f0f, v36
	v_cvt_f32_f16_e32 v22, v32
	v_cvt_f32_f16_sdwa v23, v32 dst_sel:DWORD dst_unused:UNUSED_PAD src0_sel:WORD_1
	v_lshrrev_b32_e32 v32, 4, v36
	v_lshlrev_b32_e32 v36, 4, v38
	v_lshlrev_b32_e32 v216, 11, v38
	;; [unrolled: 1-line block ×4, first 2 shown]
	v_and_b32_e32 v34, 0xf0f0f0f, v34
	v_and_b32_e32 v30, 0xf0f0f0f, v30
	;; [unrolled: 1-line block ×8, first 2 shown]
	v_ashrrev_i32_e32 v33, v41, v33
	v_lshlrev_b32_e32 v243, 4, v214
	v_lshlrev_b32_e32 v244, 11, v214
	;; [unrolled: 1-line block ×4, first 2 shown]
	v_and_b32_e32 v217, 0x100000, v217
	v_and_b32_e32 v38, 0x10000000, v38
	;; [unrolled: 1-line block ×6, first 2 shown]
	v_or3_b32 v34, v39, v34, v242
	v_or3_b32 v30, v31, v30, v248
	;; [unrolled: 1-line block ×3, first 2 shown]
	v_lshlrev_b32_e32 v254, 18, v33
	v_and_b32_e32 v36, 16, v36
	v_and_b32_e32 v216, 0x1000, v216
	;; [unrolled: 1-line block ×6, first 2 shown]
	v_or3_b32 v37, v38, v37, v217
	v_or3_b32 v39, v34, v240, v241
	;; [unrolled: 1-line block ×3, first 2 shown]
	v_lshlrev_b32_e32 v31, 25, v33
	v_and_b32_e32 v32, 0xf0f0f0f, v32
	v_or3_b32 v38, v214, v212, v245
	v_or3_b32 v212, v37, v36, v216
	;; [unrolled: 1-line block ×3, first 2 shown]
	v_and_b32_e32 v30, 0x100000, v254
	v_and_b32_e32 v31, 0x10000000, v31
	v_lshlrev_b32_e32 v252, 4, v33
	v_lshlrev_b32_e32 v253, 11, v33
	v_or3_b32 v30, v31, v32, v30
	s_waitcnt vmcnt(0)
	v_ashrrev_i32_e32 v31, v40, v21
	v_and_b32_e32 v252, 16, v252
	v_and_b32_e32 v253, 0x1000, v253
	v_lshlrev_b32_e32 v32, 4, v31
	v_lshlrev_b32_e32 v33, 11, v31
	;; [unrolled: 1-line block ×4, first 2 shown]
	v_or3_b32 v35, v30, v252, v253
	v_and_b32_e32 v30, 0xf0f0f0f, v213
	v_and_b32_e32 v36, 0x100000, v36
	;; [unrolled: 1-line block ×5, first 2 shown]
	v_or3_b32 v30, v31, v30, v36
	v_ashrrev_i32_e32 v21, v41, v21
	v_or3_b32 v33, v30, v32, v33
	v_cvt_f32_f16_e32 v31, v20
	v_cvt_f32_f16_sdwa v32, v20 dst_sel:DWORD dst_unused:UNUSED_PAD src0_sel:WORD_1
	v_lshrrev_b32_e32 v20, 4, v213
	v_lshlrev_b32_e32 v30, 4, v21
	v_lshlrev_b32_e32 v36, 11, v21
	;; [unrolled: 1-line block ×4, first 2 shown]
	v_and_b32_e32 v20, 0xf0f0f0f, v20
	v_and_b32_e32 v213, 0x100000, v213
	;; [unrolled: 1-line block ×5, first 2 shown]
	v_or3_b32 v20, v21, v20, v213
	v_or3_b32 v36, v20, v30, v36
	v_mov_b32_e32 v20, 0
	v_mov_b32_e32 v30, 0
	v_dot4c_i32_i8_e32 v20, v212, v42
	v_dot4c_i32_i8_e32 v30, v39, v43
	v_mul_f32_e32 v213, v1, v27
	v_mul_f32_e32 v214, 0x3e000000, v213
	v_cvt_f32_i32_e32 v21, v20
	v_cvt_f32_i32_e32 v20, v30
	v_mul_f32_e32 v30, v0, v26
	v_and_b32_e32 v243, 16, v243
	v_and_b32_e32 v244, 0x1000, v244
	v_pk_fma_f32 v[20:21], v[30:31], v[20:21], v[214:215] op_sel_hi:[0,1,0]
	v_add_f32_e32 v21, 0, v21
	v_or3_b32 v38, v38, v243, v244
	v_add_f32_e32 v213, v20, v21
	v_mov_b32_e32 v20, 0
	v_mov_b32_e32 v30, 0
	v_dot4c_i32_i8_e32 v20, v38, v44
	v_dot4c_i32_i8_e32 v30, v37, v45
	v_mul_f32_e32 v214, v3, v25
	v_mul_f32_e32 v214, 0x3e000000, v214
	v_cvt_f32_i32_e32 v21, v20
	v_cvt_f32_i32_e32 v20, v30
	v_mul_f32_e32 v30, v2, v24
	v_pk_fma_f32 v[20:21], v[30:31], v[20:21], v[214:215] op_sel_hi:[0,1,0]
	v_add_f32_e32 v21, v213, v21
	v_add_f32_e32 v213, v20, v21
	v_mov_b32_e32 v20, 0
	v_mov_b32_e32 v30, 0
	v_dot4c_i32_i8_e32 v20, v34, v46
	v_dot4c_i32_i8_e32 v30, v35, v47
	v_mul_f32_e32 v214, v5, v23
	v_mul_f32_e32 v214, 0x3e000000, v214
	v_cvt_f32_i32_e32 v21, v20
	v_cvt_f32_i32_e32 v20, v30
	v_mul_f32_e32 v30, v4, v22
	v_pk_fma_f32 v[20:21], v[30:31], v[20:21], v[214:215] op_sel_hi:[0,1,0]
	v_add_f32_e32 v21, v213, v21
	;; [unrolled: 12-line block ×3, first 2 shown]
	v_add_f32_e32 v20, v20, v21
	ds_bpermute_b32 v21, v227, v20
	s_waitcnt lgkmcnt(0)
	v_add_f32_e32 v20, v20, v21
	ds_bpermute_b32 v21, v228, v20
	s_waitcnt lgkmcnt(0)
	v_add_f32_e32 v30, v20, v21
	v_lshl_add_u64 v[20:21], v[64:65], 0, s[38:39]
	s_cbranch_vccz .LBB19_19
; %bb.18:                               ;   in Loop: Header=BB19_17 Depth=1
	global_load_ushort v213, v[20:21], off
	s_waitcnt vmcnt(0)
	v_fma_mix_f32 v30, v225, v213, v30 op_sel_hi:[0,1,0]
.LBB19_19:                              ;   in Loop: Header=BB19_17 Depth=1
	v_mov_b32_e32 v213, 0
	v_dot4c_i32_i8_e32 v213, v212, v50
	v_mov_b32_e32 v212, 0
	v_dot4c_i32_i8_e32 v212, v39, v51
	v_mul_f32_e32 v27, v9, v27
	v_cvt_f32_i32_e32 v213, v213
	v_mul_f32_e32 v26, v8, v26
	v_cvt_f32_i32_e32 v212, v212
	v_mul_f32_e32 v214, 0x3e000000, v27
	v_mul_f32_e32 v25, v11, v25
	v_mul_f32_e32 v24, v10, v24
	v_pk_fma_f32 v[26:27], v[26:27], v[212:213], v[214:215] op_sel_hi:[0,1,0]
	v_add_f32_e32 v27, 0, v27
	v_add_f32_e32 v39, v26, v27
	v_mov_b32_e32 v26, 0
	v_dot4c_i32_i8_e32 v26, v38, v52
	v_mov_b32_e32 v38, 0
	v_dot4c_i32_i8_e32 v38, v37, v53
	v_mul_f32_e32 v23, v13, v23
	v_cvt_f32_i32_e32 v27, v26
	v_mul_f32_e32 v22, v12, v22
	v_cvt_f32_i32_e32 v26, v38
	v_mul_f32_e32 v38, 0x3e000000, v25
	s_andn2_b64 vcc, exec, s[44:45]
	v_pk_fma_f32 v[24:25], v[24:25], v[26:27], v[38:39] op_sel_hi:[0,1,0]
	v_add_f32_e32 v25, v39, v25
	v_add_f32_e32 v27, v24, v25
	v_mov_b32_e32 v24, 0
	v_mov_b32_e32 v26, 0
	v_dot4c_i32_i8_e32 v24, v34, v54
	v_dot4c_i32_i8_e32 v26, v35, v55
	s_nop 1
	v_cvt_f32_i32_e32 v25, v24
	v_cvt_f32_i32_e32 v24, v26
	v_mul_f32_e32 v26, 0x3e000000, v23
	v_pk_fma_f32 v[22:23], v[22:23], v[24:25], v[26:27] op_sel_hi:[0,1,0]
	v_add_f32_e32 v23, v27, v23
	v_add_f32_e32 v25, v22, v23
	v_mov_b32_e32 v22, 0
	v_mov_b32_e32 v24, 0
	v_dot4c_i32_i8_e32 v22, v33, v56
	v_dot4c_i32_i8_e32 v24, v36, v57
	v_mul_f32_e32 v26, v15, v32
	v_mul_f32_e32 v26, 0x3e000000, v26
	v_cvt_f32_i32_e32 v23, v22
	v_cvt_f32_i32_e32 v22, v24
	v_mul_f32_e32 v24, v14, v31
	v_pk_fma_f32 v[22:23], v[24:25], v[22:23], v[26:27] op_sel_hi:[0,1,0]
	v_add_f32_e32 v23, v25, v23
	v_add_f32_e32 v22, v22, v23
	ds_bpermute_b32 v23, v227, v22
	v_cndmask_b32_e64 v24, 0, 1, s[44:45]
	v_cmp_ne_u32_e64 s[12:13], 1, v24
	s_waitcnt lgkmcnt(0)
	v_add_f32_e32 v22, v22, v23
	ds_bpermute_b32 v23, v228, v22
	s_waitcnt lgkmcnt(0)
	v_add_f32_e32 v31, v22, v23
	s_cbranch_vccnz .LBB19_21
; %bb.20:                               ;   in Loop: Header=BB19_17 Depth=1
	v_lshl_add_u64 v[22:23], v[62:63], 0, s[38:39]
	global_load_ushort v22, v[22:23], off
	s_waitcnt vmcnt(0)
	v_fma_mix_f32 v31, v225, v22, v31 op_sel_hi:[0,1,0]
.LBB19_21:                              ;   in Loop: Header=BB19_17 Depth=1
	v_lshl_add_u64 v[22:23], v[100:101], 0, s[48:49]
	global_load_dwordx2 v[34:35], v[22:23], off
	global_load_dwordx2 v[38:39], v[22:23], off offset:24
	global_load_dwordx2 v[214:215], v[22:23], off offset:48
	v_lshl_add_u64 v[24:25], v[86:87], 0, s[48:49]
	global_load_dword v32, v[24:25], off offset:8
	s_andn2_b64 vcc, exec, s[42:43]
	global_load_dwordx2 v[22:23], v[22:23], off offset:72
	s_waitcnt vmcnt(4)
	v_ashrrev_i32_e32 v27, v40, v35
	v_lshlrev_b32_e32 v33, 4, v27
	v_lshlrev_b32_e32 v36, 11, v27
	;; [unrolled: 1-line block ×4, first 2 shown]
	s_waitcnt vmcnt(1)
	v_and_b32_e32 v26, 0xf0f0f0f, v32
	v_and_b32_e32 v37, 0x100000, v37
	;; [unrolled: 1-line block ×5, first 2 shown]
	v_or3_b32 v26, v27, v26, v37
	v_or3_b32 v33, v26, v33, v36
	v_cvt_f32_f16_e32 v26, v34
	v_cvt_f32_f16_sdwa v27, v34 dst_sel:DWORD dst_unused:UNUSED_PAD src0_sel:WORD_1
	v_ashrrev_i32_e32 v34, v41, v35
	v_lshrrev_b32_e32 v32, 4, v32
	v_lshlrev_b32_e32 v35, 4, v34
	v_lshlrev_b32_e32 v36, 11, v34
	;; [unrolled: 1-line block ×4, first 2 shown]
	v_and_b32_e32 v32, 0xf0f0f0f, v32
	v_and_b32_e32 v37, 0x100000, v37
	;; [unrolled: 1-line block ×5, first 2 shown]
	v_or3_b32 v32, v34, v32, v37
	v_or3_b32 v34, v32, v35, v36
	global_load_dword v32, v[24:25], off offset:32
	v_ashrrev_i32_e32 v36, v40, v39
	v_lshlrev_b32_e32 v37, 4, v36
	v_lshlrev_b32_e32 v212, 11, v36
	;; [unrolled: 1-line block ×4, first 2 shown]
	v_and_b32_e32 v213, 0x100000, v213
	v_and_b32_e32 v36, 0x10000000, v36
	;; [unrolled: 1-line block ×4, first 2 shown]
	s_waitcnt vmcnt(0)
	v_and_b32_e32 v35, 0xf0f0f0f, v32
	v_or3_b32 v35, v36, v35, v213
	v_or3_b32 v37, v35, v37, v212
	v_cvt_f32_f16_e32 v35, v38
	v_cvt_f32_f16_sdwa v36, v38 dst_sel:DWORD dst_unused:UNUSED_PAD src0_sel:WORD_1
	v_ashrrev_i32_e32 v38, v41, v39
	v_lshrrev_b32_e32 v32, 4, v32
	v_lshlrev_b32_e32 v39, 4, v38
	v_lshlrev_b32_e32 v212, 11, v38
	;; [unrolled: 1-line block ×4, first 2 shown]
	v_and_b32_e32 v32, 0xf0f0f0f, v32
	v_and_b32_e32 v213, 0x100000, v213
	;; [unrolled: 1-line block ×5, first 2 shown]
	v_or3_b32 v32, v38, v32, v213
	v_or3_b32 v38, v32, v39, v212
	global_load_dword v32, v[24:25], off offset:56
	v_ashrrev_i32_e32 v212, v40, v215
	v_lshlrev_b32_e32 v213, 4, v212
	v_lshlrev_b32_e32 v216, 11, v212
	v_lshlrev_b32_e32 v217, 18, v212
	v_lshlrev_b32_e32 v212, 25, v212
	v_and_b32_e32 v217, 0x100000, v217
	v_and_b32_e32 v212, 0x10000000, v212
	;; [unrolled: 1-line block ×4, first 2 shown]
	s_waitcnt vmcnt(0)
	v_and_b32_e32 v39, 0xf0f0f0f, v32
	v_or3_b32 v39, v212, v39, v217
	v_or3_b32 v213, v39, v213, v216
	v_cvt_f32_f16_e32 v39, v214
	v_cvt_f32_f16_sdwa v212, v214 dst_sel:DWORD dst_unused:UNUSED_PAD src0_sel:WORD_1
	v_ashrrev_i32_e32 v214, v41, v215
	v_lshrrev_b32_e32 v32, 4, v32
	v_lshlrev_b32_e32 v215, 4, v214
	v_lshlrev_b32_e32 v216, 11, v214
	;; [unrolled: 1-line block ×4, first 2 shown]
	v_and_b32_e32 v32, 0xf0f0f0f, v32
	v_and_b32_e32 v217, 0x100000, v217
	;; [unrolled: 1-line block ×5, first 2 shown]
	v_or3_b32 v32, v214, v32, v217
	v_or3_b32 v214, v32, v215, v216
	global_load_dword v32, v[24:25], off offset:80
	v_ashrrev_i32_e32 v25, v40, v23
	v_lshlrev_b32_e32 v215, 4, v25
	v_lshlrev_b32_e32 v216, 11, v25
	;; [unrolled: 1-line block ×4, first 2 shown]
	v_and_b32_e32 v217, 0x100000, v217
	v_and_b32_e32 v25, 0x10000000, v25
	;; [unrolled: 1-line block ×4, first 2 shown]
	v_ashrrev_i32_e32 v23, v41, v23
	s_waitcnt vmcnt(0)
	v_and_b32_e32 v24, 0xf0f0f0f, v32
	v_or3_b32 v24, v25, v24, v217
	v_or3_b32 v25, v24, v215, v216
	v_lshrrev_b32_e32 v32, 4, v32
	v_lshlrev_b32_e32 v215, 4, v23
	v_lshlrev_b32_e32 v216, 11, v23
	;; [unrolled: 1-line block ×4, first 2 shown]
	v_and_b32_e32 v32, 0xf0f0f0f, v32
	v_and_b32_e32 v217, 0x100000, v217
	v_and_b32_e32 v23, 0x10000000, v23
	v_and_b32_e32 v215, 16, v215
	v_and_b32_e32 v216, 0x1000, v216
	v_or3_b32 v23, v23, v32, v217
	v_or3_b32 v23, v23, v215, v216
	v_mov_b32_e32 v215, 0
	v_mov_b32_e32 v217, 0
	v_dot4c_i32_i8_e32 v215, v33, v42
	v_dot4c_i32_i8_e32 v217, v34, v43
	v_mul_f32_e32 v216, v1, v27
	v_mul_f32_e32 v32, v0, v26
	v_cvt_f32_i32_e32 v241, v215
	v_cvt_f32_i32_e32 v240, v217
	v_mul_f32_e32 v216, 0x3e000000, v216
	v_cvt_f32_f16_e32 v24, v22
	v_cvt_f32_f16_sdwa v22, v22 dst_sel:DWORD dst_unused:UNUSED_PAD src0_sel:WORD_1
	v_pk_fma_f32 v[216:217], v[32:33], v[240:241], v[216:217] op_sel_hi:[0,1,0]
	v_add_f32_e32 v32, 0, v217
	v_mov_b32_e32 v217, 0
	v_mov_b32_e32 v240, 0
	v_dot4c_i32_i8_e32 v217, v37, v44
	v_dot4c_i32_i8_e32 v240, v38, v45
	v_add_f32_e32 v215, v216, v32
	v_mul_f32_e32 v216, v3, v36
	v_cvt_f32_i32_e32 v241, v217
	v_cvt_f32_i32_e32 v240, v240
	v_mul_f32_e32 v32, v2, v35
	v_mul_f32_e32 v216, 0x3e000000, v216
	v_pk_fma_f32 v[216:217], v[32:33], v[240:241], v[216:217] op_sel_hi:[0,1,0]
	v_add_f32_e32 v32, v215, v217
	v_mov_b32_e32 v217, 0
	v_mov_b32_e32 v240, 0
	v_dot4c_i32_i8_e32 v217, v213, v46
	v_dot4c_i32_i8_e32 v240, v214, v47
	v_add_f32_e32 v215, v216, v32
	v_mul_f32_e32 v216, v5, v212
	v_cvt_f32_i32_e32 v241, v217
	v_cvt_f32_i32_e32 v240, v240
	v_mul_f32_e32 v32, v4, v39
	v_mul_f32_e32 v216, 0x3e000000, v216
	;; [unrolled: 12-line block ×3, first 2 shown]
	v_pk_fma_f32 v[216:217], v[32:33], v[240:241], v[216:217] op_sel_hi:[0,1,0]
	v_add_f32_e32 v32, v215, v217
	v_add_f32_e32 v32, v216, v32
	ds_bpermute_b32 v215, v227, v32
	s_waitcnt lgkmcnt(0)
	v_add_f32_e32 v32, v32, v215
	ds_bpermute_b32 v215, v228, v32
	s_waitcnt lgkmcnt(0)
	v_add_f32_e32 v32, v32, v215
	v_cndmask_b32_e64 v215, 0, 1, s[42:43]
	v_cmp_ne_u32_e64 s[14:15], 1, v215
	s_cbranch_vccnz .LBB19_23
; %bb.22:                               ;   in Loop: Header=BB19_17 Depth=1
	global_load_ushort v215, v[20:21], off offset:2
	s_waitcnt vmcnt(0)
	v_fma_mix_f32 v32, v225, v215, v32 op_sel_hi:[0,1,0]
.LBB19_23:                              ;   in Loop: Header=BB19_17 Depth=1
	v_mov_b32_e32 v215, 0
	v_dot4c_i32_i8_e32 v215, v33, v50
	v_mov_b32_e32 v33, 0
	v_dot4c_i32_i8_e32 v33, v34, v51
	v_mul_f32_e32 v27, v9, v27
	v_cvt_f32_i32_e32 v217, v215
	v_mul_f32_e32 v26, v8, v26
	v_cvt_f32_i32_e32 v216, v33
	v_mul_f32_e32 v34, 0x3e000000, v27
	v_mul_f32_e32 v22, v15, v22
	;; [unrolled: 1-line block ×3, first 2 shown]
	v_pk_fma_f32 v[26:27], v[26:27], v[216:217], v[34:35] op_sel_hi:[0,1,0]
	v_add_f32_e32 v27, 0, v27
	v_add_f32_e32 v33, v26, v27
	v_mov_b32_e32 v26, 0
	v_mov_b32_e32 v34, 0
	v_dot4c_i32_i8_e32 v26, v37, v52
	v_dot4c_i32_i8_e32 v34, v38, v53
	v_mul_f32_e32 v22, 0x3e000000, v22
	s_and_b64 vcc, exec, s[12:13]
	v_cvt_f32_i32_e32 v27, v26
	v_cvt_f32_i32_e32 v26, v34
	v_mul_f32_e32 v34, v10, v35
	v_mul_f32_e32 v35, v11, v36
	;; [unrolled: 1-line block ×3, first 2 shown]
	v_pk_fma_f32 v[26:27], v[34:35], v[26:27], v[36:37] op_sel_hi:[0,1,0]
	v_add_f32_e32 v27, v33, v27
	v_add_f32_e32 v33, v26, v27
	v_mov_b32_e32 v26, 0
	v_mov_b32_e32 v34, 0
	v_dot4c_i32_i8_e32 v26, v213, v54
	v_dot4c_i32_i8_e32 v34, v214, v55
	v_mul_f32_e32 v35, v13, v212
	v_mul_f32_e32 v36, 0x3e000000, v35
	v_cvt_f32_i32_e32 v27, v26
	v_cvt_f32_i32_e32 v26, v34
	v_mul_f32_e32 v34, v12, v39
	v_pk_fma_f32 v[26:27], v[34:35], v[26:27], v[36:37] op_sel_hi:[0,1,0]
	v_add_f32_e32 v27, v33, v27
	v_add_f32_e32 v33, v26, v27
	v_mov_b32_e32 v26, 0
	v_dot4c_i32_i8_e32 v26, v25, v56
	v_mov_b32_e32 v25, 0
	v_dot4c_i32_i8_e32 v25, v23, v57
	s_nop 0
	v_cvt_f32_i32_e32 v27, v26
	s_nop 0
	v_cvt_f32_i32_e32 v26, v25
	v_pk_fma_f32 v[22:23], v[24:25], v[26:27], v[22:23] op_sel_hi:[0,1,0]
	v_add_f32_e32 v23, v33, v23
	v_add_f32_e32 v22, v22, v23
	ds_bpermute_b32 v23, v227, v22
	s_waitcnt lgkmcnt(0)
	v_add_f32_e32 v22, v22, v23
	ds_bpermute_b32 v23, v228, v22
	s_waitcnt lgkmcnt(0)
	v_add_f32_e32 v33, v22, v23
	v_lshl_add_u64 v[22:23], v[66:67], 0, s[38:39]
	s_cbranch_vccnz .LBB19_25
; %bb.24:                               ;   in Loop: Header=BB19_17 Depth=1
	global_load_ushort v24, v[22:23], off offset:2
	s_waitcnt vmcnt(0)
	v_fma_mix_f32 v33, v225, v24, v33 op_sel_hi:[0,1,0]
.LBB19_25:                              ;   in Loop: Header=BB19_17 Depth=1
	v_lshl_add_u64 v[24:25], v[82:83], 0, s[48:49]
	global_load_dwordx2 v[38:39], v[24:25], off
	global_load_dwordx2 v[214:215], v[24:25], off offset:24
	global_load_dwordx2 v[240:241], v[24:25], off offset:48
	v_lshl_add_u64 v[26:27], v[70:71], 0, s[48:49]
	global_load_dword v35, v[26:27], off offset:8
	s_and_b64 vcc, exec, s[14:15]
	global_load_dwordx2 v[24:25], v[24:25], off offset:72
	s_waitcnt vmcnt(4)
	v_ashrrev_i32_e32 v36, v40, v39
	v_lshlrev_b32_e32 v37, 4, v36
	v_lshlrev_b32_e32 v212, 11, v36
	;; [unrolled: 1-line block ×4, first 2 shown]
	s_waitcnt vmcnt(1)
	v_and_b32_e32 v34, 0xf0f0f0f, v35
	v_and_b32_e32 v213, 0x100000, v213
	;; [unrolled: 1-line block ×5, first 2 shown]
	v_or3_b32 v34, v36, v34, v213
	v_or3_b32 v37, v34, v37, v212
	v_cvt_f32_f16_e32 v34, v38
	v_cvt_f32_f16_sdwa v36, v38 dst_sel:DWORD dst_unused:UNUSED_PAD src0_sel:WORD_1
	v_ashrrev_i32_e32 v38, v41, v39
	v_lshrrev_b32_e32 v35, 4, v35
	v_lshlrev_b32_e32 v39, 4, v38
	v_lshlrev_b32_e32 v212, 11, v38
	;; [unrolled: 1-line block ×4, first 2 shown]
	v_and_b32_e32 v35, 0xf0f0f0f, v35
	v_and_b32_e32 v213, 0x100000, v213
	;; [unrolled: 1-line block ×5, first 2 shown]
	v_or3_b32 v35, v38, v35, v213
	v_or3_b32 v38, v35, v39, v212
	global_load_dword v35, v[26:27], off offset:32
	v_ashrrev_i32_e32 v212, v40, v215
	v_lshlrev_b32_e32 v213, 4, v212
	v_lshlrev_b32_e32 v216, 11, v212
	;; [unrolled: 1-line block ×4, first 2 shown]
	v_and_b32_e32 v217, 0x100000, v217
	v_and_b32_e32 v212, 0x10000000, v212
	;; [unrolled: 1-line block ×4, first 2 shown]
	s_waitcnt vmcnt(0)
	v_and_b32_e32 v39, 0xf0f0f0f, v35
	v_or3_b32 v39, v212, v39, v217
	v_or3_b32 v213, v39, v213, v216
	v_cvt_f32_f16_e32 v39, v214
	v_cvt_f32_f16_sdwa v212, v214 dst_sel:DWORD dst_unused:UNUSED_PAD src0_sel:WORD_1
	v_ashrrev_i32_e32 v214, v41, v215
	v_lshrrev_b32_e32 v35, 4, v35
	v_lshlrev_b32_e32 v215, 4, v214
	v_lshlrev_b32_e32 v216, 11, v214
	;; [unrolled: 1-line block ×4, first 2 shown]
	v_and_b32_e32 v35, 0xf0f0f0f, v35
	v_and_b32_e32 v217, 0x100000, v217
	;; [unrolled: 1-line block ×5, first 2 shown]
	v_or3_b32 v35, v214, v35, v217
	v_or3_b32 v214, v35, v215, v216
	global_load_dword v35, v[26:27], off offset:56
	v_ashrrev_i32_e32 v216, v40, v241
	v_lshlrev_b32_e32 v217, 4, v216
	v_lshlrev_b32_e32 v242, 11, v216
	;; [unrolled: 1-line block ×4, first 2 shown]
	v_and_b32_e32 v243, 0x100000, v243
	v_and_b32_e32 v216, 0x10000000, v216
	;; [unrolled: 1-line block ×4, first 2 shown]
	s_waitcnt vmcnt(0)
	v_and_b32_e32 v215, 0xf0f0f0f, v35
	v_or3_b32 v215, v216, v215, v243
	v_or3_b32 v217, v215, v217, v242
	v_cvt_f32_f16_e32 v215, v240
	v_cvt_f32_f16_sdwa v216, v240 dst_sel:DWORD dst_unused:UNUSED_PAD src0_sel:WORD_1
	v_ashrrev_i32_e32 v240, v41, v241
	v_lshrrev_b32_e32 v35, 4, v35
	v_lshlrev_b32_e32 v241, 4, v240
	v_lshlrev_b32_e32 v242, 11, v240
	;; [unrolled: 1-line block ×4, first 2 shown]
	v_and_b32_e32 v35, 0xf0f0f0f, v35
	v_and_b32_e32 v243, 0x100000, v243
	;; [unrolled: 1-line block ×5, first 2 shown]
	v_or3_b32 v35, v240, v35, v243
	v_or3_b32 v240, v35, v241, v242
	global_load_dword v35, v[26:27], off offset:80
	v_ashrrev_i32_e32 v27, v40, v25
	v_lshlrev_b32_e32 v241, 4, v27
	v_lshlrev_b32_e32 v242, 11, v27
	;; [unrolled: 1-line block ×4, first 2 shown]
	v_and_b32_e32 v243, 0x100000, v243
	v_and_b32_e32 v27, 0x10000000, v27
	v_and_b32_e32 v241, 16, v241
	v_and_b32_e32 v242, 0x1000, v242
	v_ashrrev_i32_e32 v25, v41, v25
	s_waitcnt vmcnt(0)
	v_and_b32_e32 v26, 0xf0f0f0f, v35
	v_or3_b32 v26, v27, v26, v243
	v_or3_b32 v27, v26, v241, v242
	v_lshrrev_b32_e32 v35, 4, v35
	v_lshlrev_b32_e32 v241, 4, v25
	v_lshlrev_b32_e32 v242, 11, v25
	;; [unrolled: 1-line block ×4, first 2 shown]
	v_and_b32_e32 v35, 0xf0f0f0f, v35
	v_and_b32_e32 v243, 0x100000, v243
	;; [unrolled: 1-line block ×5, first 2 shown]
	v_or3_b32 v25, v25, v35, v243
	v_or3_b32 v25, v25, v241, v242
	v_mul_f32_e32 v241, v1, v36
	v_mov_b32_e32 v35, 0
	v_mul_f32_e32 v244, 0x3e000000, v241
	v_mov_b32_e32 v241, 0
	v_dot4c_i32_i8_e32 v35, v37, v42
	v_dot4c_i32_i8_e32 v241, v38, v43
	v_mul_f32_e32 v242, v0, v34
	v_cvt_f32_f16_e32 v26, v24
	v_cvt_f32_i32_e32 v247, v35
	v_cvt_f32_i32_e32 v246, v241
	v_mov_b32_e32 v241, 0
	v_dot4c_i32_i8_e32 v241, v213, v44
	v_cvt_f32_f16_sdwa v24, v24 dst_sel:DWORD dst_unused:UNUSED_PAD src0_sel:WORD_1
	v_pk_fma_f32 v[242:243], v[242:243], v[246:247], v[244:245] op_sel_hi:[0,1,0]
	v_add_f32_e32 v35, 0, v243
	v_mul_f32_e32 v243, v3, v212
	v_mul_f32_e32 v244, 0x3e000000, v243
	v_mov_b32_e32 v243, 0
	v_dot4c_i32_i8_e32 v243, v214, v45
	v_cvt_f32_i32_e32 v247, v241
	v_add_f32_e32 v35, v242, v35
	v_mul_f32_e32 v242, v2, v39
	v_cvt_f32_i32_e32 v246, v243
	v_mov_b32_e32 v241, 0
	v_dot4c_i32_i8_e32 v241, v217, v46
	v_pk_fma_f32 v[242:243], v[242:243], v[246:247], v[244:245] op_sel_hi:[0,1,0]
	v_add_f32_e32 v35, v35, v243
	v_mul_f32_e32 v243, v5, v216
	v_mul_f32_e32 v244, 0x3e000000, v243
	v_mov_b32_e32 v243, 0
	v_dot4c_i32_i8_e32 v243, v240, v47
	v_cvt_f32_i32_e32 v247, v241
	v_add_f32_e32 v35, v242, v35
	v_mul_f32_e32 v242, v4, v215
	v_cvt_f32_i32_e32 v246, v243
	v_mov_b32_e32 v241, 0
	v_dot4c_i32_i8_e32 v241, v27, v48
	v_pk_fma_f32 v[242:243], v[242:243], v[246:247], v[244:245] op_sel_hi:[0,1,0]
	v_add_f32_e32 v35, v35, v243
	v_mul_f32_e32 v243, v7, v24
	v_mul_f32_e32 v244, 0x3e000000, v243
	v_mov_b32_e32 v243, 0
	v_dot4c_i32_i8_e32 v243, v25, v49
	v_cvt_f32_i32_e32 v247, v241
	v_add_f32_e32 v35, v242, v35
	v_mul_f32_e32 v242, v6, v26
	v_cvt_f32_i32_e32 v246, v243
	v_pk_fma_f32 v[242:243], v[242:243], v[246:247], v[244:245] op_sel_hi:[0,1,0]
	v_add_f32_e32 v35, v35, v243
	v_add_f32_e32 v35, v242, v35
	ds_bpermute_b32 v241, v227, v35
	s_waitcnt lgkmcnt(0)
	v_add_f32_e32 v35, v35, v241
	ds_bpermute_b32 v241, v228, v35
	s_waitcnt lgkmcnt(0)
	v_add_f32_e32 v35, v35, v241
	s_cbranch_vccnz .LBB19_27
; %bb.26:                               ;   in Loop: Header=BB19_17 Depth=1
	global_load_ushort v241, v[20:21], off offset:4
	s_waitcnt vmcnt(0)
	v_fma_mix_f32 v35, v225, v241, v35 op_sel_hi:[0,1,0]
.LBB19_27:                              ;   in Loop: Header=BB19_17 Depth=1
	v_mov_b32_e32 v241, 0
	v_dot4c_i32_i8_e32 v241, v37, v50
	v_mov_b32_e32 v37, 0
	v_dot4c_i32_i8_e32 v37, v38, v51
	v_mul_f32_e32 v36, v9, v36
	v_cvt_f32_i32_e32 v243, v241
	v_mul_f32_e32 v34, v8, v34
	v_cvt_f32_i32_e32 v242, v37
	v_mul_f32_e32 v36, 0x3e000000, v36
	v_mul_f32_e32 v38, v11, v212
	;; [unrolled: 1-line block ×3, first 2 shown]
	v_pk_fma_f32 v[36:37], v[34:35], v[242:243], v[36:37] op_sel_hi:[0,1,0]
	v_add_f32_e32 v34, 0, v37
	v_add_f32_e32 v241, v36, v34
	v_mov_b32_e32 v34, 0
	v_mov_b32_e32 v36, 0
	v_dot4c_i32_i8_e32 v34, v213, v52
	v_dot4c_i32_i8_e32 v36, v214, v53
	v_mul_f32_e32 v24, v15, v24
	v_mul_f32_e32 v26, v14, v26
	v_cvt_f32_i32_e32 v37, v34
	v_cvt_f32_i32_e32 v36, v36
	v_mul_f32_e32 v34, v10, v39
	v_mul_f32_e32 v24, 0x3e000000, v24
	s_and_b64 vcc, exec, s[12:13]
	v_pk_fma_f32 v[36:37], v[34:35], v[36:37], v[38:39] op_sel_hi:[0,1,0]
	v_add_f32_e32 v34, v241, v37
	v_add_f32_e32 v39, v36, v34
	v_mov_b32_e32 v34, 0
	v_mov_b32_e32 v36, 0
	v_dot4c_i32_i8_e32 v34, v217, v54
	v_dot4c_i32_i8_e32 v36, v240, v55
	v_mul_f32_e32 v38, v13, v216
	v_mul_f32_e32 v38, 0x3e000000, v38
	v_cvt_f32_i32_e32 v37, v34
	v_cvt_f32_i32_e32 v36, v36
	v_mul_f32_e32 v34, v12, v215
	v_pk_fma_f32 v[36:37], v[34:35], v[36:37], v[38:39] op_sel_hi:[0,1,0]
	v_add_f32_e32 v34, v39, v37
	v_add_f32_e32 v34, v36, v34
	v_mov_b32_e32 v36, 0
	v_dot4c_i32_i8_e32 v36, v27, v56
	v_mov_b32_e32 v27, 0
	v_dot4c_i32_i8_e32 v27, v25, v57
	s_nop 0
	v_cvt_f32_i32_e32 v37, v36
	s_nop 0
	v_cvt_f32_i32_e32 v36, v27
	v_pk_fma_f32 v[24:25], v[26:27], v[36:37], v[24:25] op_sel_hi:[0,1,0]
	v_add_f32_e32 v25, v34, v25
	v_add_f32_e32 v24, v24, v25
	ds_bpermute_b32 v25, v227, v24
	s_waitcnt lgkmcnt(0)
	v_add_f32_e32 v24, v24, v25
	ds_bpermute_b32 v25, v228, v24
	s_waitcnt lgkmcnt(0)
	v_add_f32_e32 v34, v24, v25
	s_cbranch_vccnz .LBB19_29
; %bb.28:                               ;   in Loop: Header=BB19_17 Depth=1
	global_load_ushort v24, v[22:23], off offset:4
	s_waitcnt vmcnt(0)
	v_fma_mix_f32 v34, v225, v24, v34 op_sel_hi:[0,1,0]
.LBB19_29:                              ;   in Loop: Header=BB19_17 Depth=1
	v_lshl_add_u64 v[24:25], v[68:69], 0, s[48:49]
	global_load_dwordx2 v[212:213], v[24:25], off
	global_load_dwordx2 v[216:217], v[24:25], off offset:24
	global_load_dwordx2 v[242:243], v[24:25], off offset:48
	v_lshl_add_u64 v[26:27], v[60:61], 0, s[48:49]
	global_load_dword v39, v[26:27], off offset:8
	s_and_b64 vcc, exec, s[14:15]
	global_load_dwordx2 v[24:25], v[24:25], off offset:72
	s_waitcnt vmcnt(4)
	v_ashrrev_i32_e32 v37, v40, v213
	v_lshlrev_b32_e32 v38, 4, v37
	v_lshlrev_b32_e32 v214, 11, v37
	;; [unrolled: 1-line block ×4, first 2 shown]
	s_waitcnt vmcnt(1)
	v_and_b32_e32 v36, 0xf0f0f0f, v39
	v_and_b32_e32 v215, 0x100000, v215
	;; [unrolled: 1-line block ×5, first 2 shown]
	v_or3_b32 v36, v37, v36, v215
	v_or3_b32 v38, v36, v38, v214
	v_cvt_f32_f16_e32 v36, v212
	v_cvt_f32_f16_sdwa v37, v212 dst_sel:DWORD dst_unused:UNUSED_PAD src0_sel:WORD_1
	v_ashrrev_i32_e32 v212, v41, v213
	v_lshrrev_b32_e32 v39, 4, v39
	v_lshlrev_b32_e32 v213, 4, v212
	v_lshlrev_b32_e32 v214, 11, v212
	;; [unrolled: 1-line block ×4, first 2 shown]
	v_and_b32_e32 v39, 0xf0f0f0f, v39
	v_and_b32_e32 v215, 0x100000, v215
	;; [unrolled: 1-line block ×3, first 2 shown]
	v_or3_b32 v39, v212, v39, v215
	global_load_dword v215, v[26:27], off offset:32
	v_and_b32_e32 v213, 16, v213
	v_and_b32_e32 v214, 0x1000, v214
	v_or3_b32 v39, v39, v213, v214
	v_ashrrev_i32_e32 v213, v40, v217
	v_lshlrev_b32_e32 v214, 4, v213
	v_lshlrev_b32_e32 v240, 11, v213
	v_lshlrev_b32_e32 v241, 18, v213
	v_lshlrev_b32_e32 v213, 25, v213
	v_and_b32_e32 v241, 0x100000, v241
	v_and_b32_e32 v213, 0x10000000, v213
	;; [unrolled: 1-line block ×4, first 2 shown]
	s_waitcnt vmcnt(0)
	v_and_b32_e32 v212, 0xf0f0f0f, v215
	v_or3_b32 v212, v213, v212, v241
	v_or3_b32 v214, v212, v214, v240
	v_cvt_f32_f16_e32 v212, v216
	v_cvt_f32_f16_sdwa v213, v216 dst_sel:DWORD dst_unused:UNUSED_PAD src0_sel:WORD_1
	v_ashrrev_i32_e32 v216, v41, v217
	v_lshrrev_b32_e32 v215, 4, v215
	v_lshlrev_b32_e32 v217, 4, v216
	v_lshlrev_b32_e32 v240, 11, v216
	;; [unrolled: 1-line block ×4, first 2 shown]
	v_and_b32_e32 v215, 0xf0f0f0f, v215
	v_and_b32_e32 v241, 0x100000, v241
	v_and_b32_e32 v216, 0x10000000, v216
	v_or3_b32 v215, v216, v215, v241
	global_load_dword v241, v[26:27], off offset:56
	v_and_b32_e32 v217, 16, v217
	v_and_b32_e32 v240, 0x1000, v240
	v_or3_b32 v215, v215, v217, v240
	v_ashrrev_i32_e32 v217, v40, v243
	v_lshlrev_b32_e32 v240, 4, v217
	v_lshlrev_b32_e32 v244, 11, v217
	;; [unrolled: 1-line block ×4, first 2 shown]
	v_and_b32_e32 v245, 0x100000, v245
	v_and_b32_e32 v217, 0x10000000, v217
	;; [unrolled: 1-line block ×4, first 2 shown]
	s_waitcnt vmcnt(0)
	v_and_b32_e32 v216, 0xf0f0f0f, v241
	v_or3_b32 v216, v217, v216, v245
	v_or3_b32 v240, v216, v240, v244
	v_cvt_f32_f16_e32 v216, v242
	v_cvt_f32_f16_sdwa v217, v242 dst_sel:DWORD dst_unused:UNUSED_PAD src0_sel:WORD_1
	v_ashrrev_i32_e32 v242, v41, v243
	v_lshrrev_b32_e32 v241, 4, v241
	v_lshlrev_b32_e32 v243, 4, v242
	v_lshlrev_b32_e32 v244, 11, v242
	;; [unrolled: 1-line block ×4, first 2 shown]
	v_and_b32_e32 v241, 0xf0f0f0f, v241
	v_and_b32_e32 v245, 0x100000, v245
	;; [unrolled: 1-line block ×3, first 2 shown]
	v_or3_b32 v241, v242, v241, v245
	global_load_dword v242, v[26:27], off offset:80
	v_and_b32_e32 v243, 16, v243
	v_and_b32_e32 v244, 0x1000, v244
	v_ashrrev_i32_e32 v27, v40, v25
	v_or3_b32 v241, v241, v243, v244
	v_lshlrev_b32_e32 v243, 4, v27
	v_lshlrev_b32_e32 v244, 11, v27
	;; [unrolled: 1-line block ×4, first 2 shown]
	v_and_b32_e32 v245, 0x100000, v245
	v_and_b32_e32 v27, 0x10000000, v27
	;; [unrolled: 1-line block ×4, first 2 shown]
	v_ashrrev_i32_e32 v25, v41, v25
	s_waitcnt vmcnt(0)
	v_and_b32_e32 v26, 0xf0f0f0f, v242
	v_or3_b32 v26, v27, v26, v245
	v_or3_b32 v27, v26, v243, v244
	v_lshrrev_b32_e32 v242, 4, v242
	v_lshlrev_b32_e32 v243, 4, v25
	v_lshlrev_b32_e32 v244, 11, v25
	;; [unrolled: 1-line block ×4, first 2 shown]
	v_and_b32_e32 v242, 0xf0f0f0f, v242
	v_and_b32_e32 v245, 0x100000, v245
	;; [unrolled: 1-line block ×5, first 2 shown]
	v_or3_b32 v25, v25, v242, v245
	v_or3_b32 v25, v25, v243, v244
	v_mov_b32_e32 v243, 0
	v_mov_b32_e32 v245, 0
	v_dot4c_i32_i8_e32 v243, v38, v42
	v_dot4c_i32_i8_e32 v245, v39, v43
	v_mul_f32_e32 v244, v1, v37
	v_mul_f32_e32 v242, v0, v36
	v_cvt_f32_i32_e32 v247, v243
	v_cvt_f32_i32_e32 v246, v245
	v_mul_f32_e32 v244, 0x3e000000, v244
	v_cvt_f32_f16_e32 v26, v24
	v_cvt_f32_f16_sdwa v24, v24 dst_sel:DWORD dst_unused:UNUSED_PAD src0_sel:WORD_1
	v_pk_fma_f32 v[242:243], v[242:243], v[246:247], v[244:245] op_sel_hi:[0,1,0]
	v_add_f32_e32 v243, 0, v243
	v_add_f32_e32 v245, v242, v243
	v_mov_b32_e32 v243, 0
	v_mov_b32_e32 v246, 0
	v_dot4c_i32_i8_e32 v243, v214, v44
	v_dot4c_i32_i8_e32 v246, v215, v45
	v_mul_f32_e32 v244, v3, v213
	v_mul_f32_e32 v242, v2, v212
	v_cvt_f32_i32_e32 v247, v243
	v_cvt_f32_i32_e32 v246, v246
	v_mul_f32_e32 v244, 0x3e000000, v244
	v_pk_fma_f32 v[242:243], v[242:243], v[246:247], v[244:245] op_sel_hi:[0,1,0]
	v_add_f32_e32 v243, v245, v243
	v_add_f32_e32 v245, v242, v243
	v_mov_b32_e32 v243, 0
	v_mov_b32_e32 v246, 0
	v_dot4c_i32_i8_e32 v243, v240, v46
	v_dot4c_i32_i8_e32 v246, v241, v47
	v_mul_f32_e32 v244, v5, v217
	v_mul_f32_e32 v242, v4, v216
	v_cvt_f32_i32_e32 v247, v243
	v_cvt_f32_i32_e32 v246, v246
	v_mul_f32_e32 v244, 0x3e000000, v244
	v_pk_fma_f32 v[242:243], v[242:243], v[246:247], v[244:245] op_sel_hi:[0,1,0]
	v_add_f32_e32 v243, v245, v243
	v_add_f32_e32 v245, v242, v243
	v_mov_b32_e32 v243, 0
	v_mov_b32_e32 v246, 0
	v_dot4c_i32_i8_e32 v243, v27, v48
	v_dot4c_i32_i8_e32 v246, v25, v49
	v_mul_f32_e32 v244, v7, v24
	v_mul_f32_e32 v242, v6, v26
	v_cvt_f32_i32_e32 v247, v243
	v_cvt_f32_i32_e32 v246, v246
	v_mul_f32_e32 v244, 0x3e000000, v244
	v_pk_fma_f32 v[242:243], v[242:243], v[246:247], v[244:245] op_sel_hi:[0,1,0]
	v_add_f32_e32 v243, v245, v243
	v_add_f32_e32 v242, v242, v243
	ds_bpermute_b32 v243, v227, v242
	s_waitcnt lgkmcnt(0)
	v_add_f32_e32 v242, v242, v243
	ds_bpermute_b32 v243, v228, v242
	s_waitcnt lgkmcnt(0)
	v_add_f32_e32 v242, v242, v243
	s_cbranch_vccnz .LBB19_31
; %bb.30:                               ;   in Loop: Header=BB19_17 Depth=1
	global_load_ushort v20, v[20:21], off offset:6
	s_waitcnt vmcnt(0)
	v_fma_mix_f32 v242, v225, v20, v242 op_sel_hi:[0,1,0]
.LBB19_31:                              ;   in Loop: Header=BB19_17 Depth=1
	v_mov_b32_e32 v20, 0
	v_dot4c_i32_i8_e32 v20, v38, v50
	v_mov_b32_e32 v38, 0
	v_dot4c_i32_i8_e32 v38, v39, v51
	v_mul_f32_e32 v37, v9, v37
	v_cvt_f32_i32_e32 v21, v20
	v_mul_f32_e32 v36, v8, v36
	v_cvt_f32_i32_e32 v20, v38
	v_mul_f32_e32 v38, 0x3e000000, v37
	v_mul_f32_e32 v24, v15, v24
	;; [unrolled: 1-line block ×3, first 2 shown]
	v_pk_fma_f32 v[20:21], v[36:37], v[20:21], v[38:39] op_sel_hi:[0,1,0]
	v_add_f32_e32 v21, 0, v21
	v_add_f32_e32 v37, v20, v21
	v_mov_b32_e32 v20, 0
	v_mov_b32_e32 v36, 0
	v_dot4c_i32_i8_e32 v20, v214, v52
	v_dot4c_i32_i8_e32 v36, v215, v53
	v_mul_f32_e32 v38, v11, v213
	v_mul_f32_e32 v38, 0x3e000000, v38
	v_cvt_f32_i32_e32 v21, v20
	v_cvt_f32_i32_e32 v20, v36
	v_mul_f32_e32 v36, v10, v212
	v_mul_f32_e32 v24, 0x3e000000, v24
	s_and_b64 vcc, exec, s[12:13]
	v_pk_fma_f32 v[20:21], v[36:37], v[20:21], v[38:39] op_sel_hi:[0,1,0]
	v_add_f32_e32 v21, v37, v21
	v_add_f32_e32 v37, v20, v21
	v_mov_b32_e32 v20, 0
	v_mov_b32_e32 v36, 0
	v_dot4c_i32_i8_e32 v20, v240, v54
	v_dot4c_i32_i8_e32 v36, v241, v55
	v_mul_f32_e32 v38, v13, v217
	v_mul_f32_e32 v38, 0x3e000000, v38
	v_cvt_f32_i32_e32 v21, v20
	v_cvt_f32_i32_e32 v20, v36
	v_mul_f32_e32 v36, v12, v216
	v_pk_fma_f32 v[20:21], v[36:37], v[20:21], v[38:39] op_sel_hi:[0,1,0]
	v_add_f32_e32 v21, v37, v21
	v_add_f32_e32 v36, v20, v21
	v_mov_b32_e32 v20, 0
	v_dot4c_i32_i8_e32 v20, v27, v56
	v_mov_b32_e32 v27, 0
	v_dot4c_i32_i8_e32 v27, v25, v57
	s_nop 0
	v_cvt_f32_i32_e32 v21, v20
	s_nop 0
	v_cvt_f32_i32_e32 v20, v27
	v_pk_fma_f32 v[20:21], v[26:27], v[20:21], v[24:25] op_sel_hi:[0,1,0]
	v_add_f32_e32 v21, v36, v21
	v_add_f32_e32 v20, v20, v21
	ds_bpermute_b32 v21, v227, v20
	s_waitcnt lgkmcnt(0)
	v_add_f32_e32 v20, v20, v21
	ds_bpermute_b32 v21, v228, v20
	s_waitcnt lgkmcnt(0)
	v_add_f32_e32 v20, v20, v21
	s_cbranch_vccnz .LBB19_33
; %bb.32:                               ;   in Loop: Header=BB19_17 Depth=1
	global_load_ushort v21, v[22:23], off offset:6
	s_waitcnt vmcnt(0)
	v_fma_mix_f32 v20, v225, v21, v20 op_sel_hi:[0,1,0]
.LBB19_33:                              ;   in Loop: Header=BB19_17 Depth=1
	v_add_f32_e32 v21, 0x40051340, v30
	v_add_f32_e32 v22, 0x40051340, v32
	v_max3_f32 v21, v29, v21, v22
	v_add_f32_e32 v22, 0x40051340, v35
	v_add_f32_e32 v23, 0x40051340, v242
	v_max3_f32 v21, v21, v22, v23
	ds_bpermute_b32 v22, v229, v21
	v_add_f32_e32 v25, 0x40051340, v31
	v_add_f32_e32 v26, 0x40051340, v33
	v_max3_f32 v25, v28, v25, v26
	v_cndmask_b32_e64 v23, v210, v30, s[16:17]
	s_waitcnt lgkmcnt(0)
	v_max_f32_e32 v22, v22, v22
	v_max_f32_e32 v21, v21, v22
	ds_bpermute_b32 v22, v230, v21
	v_cndmask_b32_e64 v23, v23, v32, s[6:7]
	v_cndmask_b32_e64 v23, v23, v35, s[8:9]
	v_add_f32_e32 v27, 0x40051340, v34
	v_cndmask_b32_e64 v23, v23, v242, s[10:11]
	s_waitcnt lgkmcnt(0)
	v_max_f32_e32 v22, v22, v22
	v_max_f32_e32 v21, v21, v22
	ds_bpermute_b32 v22, v231, v21
	v_cndmask_b32_e64 v24, v211, v31, s[16:17]
	v_cndmask_b32_e64 v24, v24, v33, s[6:7]
	;; [unrolled: 1-line block ×4, first 2 shown]
	s_waitcnt lgkmcnt(0)
	v_max_f32_e32 v22, v22, v22
	v_max_f32_e32 v212, v21, v22
	v_sub_f32_e32 v21, v29, v212
	v_mul_f32_e32 v22, 0x3fb8aa3b, v21
	v_fma_f32 v26, v21, s18, -v22
	v_rndne_f32_e32 v29, v22
	v_fmac_f32_e32 v26, 0x32a5705f, v21
	v_sub_f32_e32 v22, v22, v29
	v_add_f32_e32 v22, v22, v26
	v_exp_f32_e32 v22, v22
	v_cvt_i32_f32_e32 v26, v29
	v_add_f32_e32 v29, 0x40051340, v20
	v_cmp_ngt_f32_e32 vcc, s19, v21
	v_max3_f32 v25, v25, v27, v29
	v_ldexp_f32 v22, v22, v26
	v_cndmask_b32_e32 v26, 0, v22, vcc
	v_sub_f32_e32 v27, v23, v212
	v_lshl_add_u64 v[22:23], v[74:75], 0, s[22:23]
	global_load_dword v240, v[22:23], off
	v_mul_f32_e32 v29, 0x3fb8aa3b, v27
	v_fma_f32 v30, v27, s18, -v29
	v_rndne_f32_e32 v31, v29
	v_fmac_f32_e32 v30, 0x32a5705f, v27
	v_sub_f32_e32 v22, v29, v31
	v_add_f32_e32 v29, v22, v30
	v_lshl_add_u64 v[22:23], v[72:73], 0, s[22:23]
	ds_bpermute_b32 v30, v229, v25
	global_load_dwordx2 v[214:215], v[22:23], off offset:-4
	v_exp_f32_e32 v23, v29
	v_cvt_i32_f32_e32 v29, v31
	v_cmp_nlt_f32_e32 vcc, s20, v21
	s_add_i32 s26, s26, s40
	v_lshl_add_u64 v[60:61], v[60:61], 0, s[50:51]
	v_ldexp_f32 v21, v23, v29
	s_waitcnt lgkmcnt(0)
	v_max_f32_e32 v23, v30, v30
	v_max_f32_e32 v23, v25, v23
	ds_bpermute_b32 v25, v230, v23
	v_cndmask_b32_e32 v22, v238, v26, vcc
	v_cmp_ngt_f32_e32 vcc, s19, v27
	v_cvt_f16_f32_e32 v26, v22
	v_lshl_add_u64 v[62:63], v[62:63], 0, s[46:47]
	s_waitcnt lgkmcnt(0)
	v_max_f32_e32 v25, v25, v25
	v_max_f32_e32 v23, v23, v25
	ds_bpermute_b32 v25, v231, v23
	v_cndmask_b32_e32 v21, 0, v21, vcc
	v_cmp_nlt_f32_e32 vcc, s20, v27
	v_mul_u32_u24_e32 v26, 0x10001, v26
	v_pk_mul_f16 v243, v16, v26
	v_cndmask_b32_e32 v210, v238, v21, vcc
	v_cvt_f16_f32_e32 v21, v210
	s_waitcnt lgkmcnt(0)
	v_max_f32_e32 v20, v25, v25
	v_max_f32_e32 v213, v23, v20
	v_sub_f32_e32 v23, v28, v213
	v_mul_f32_e32 v20, 0x3fb8aa3b, v23
	ds_write_b16 v222, v21
	v_fma_f32 v21, v23, s18, -v20
	v_rndne_f32_e32 v25, v20
	v_fmac_f32_e32 v21, 0x32a5705f, v23
	v_sub_f32_e32 v20, v20, v25
	v_add_f32_e32 v20, v20, v21
	v_exp_f32_e32 v27, v20
	v_cvt_i32_f32_e32 v25, v25
	v_lshl_add_u64 v[20:21], v[78:79], 0, s[22:23]
	global_load_dword v242, v[20:21], off
	v_lshl_add_u64 v[20:21], v[76:77], 0, s[22:23]
	global_load_dwordx2 v[216:217], v[20:21], off
	v_sub_f32_e32 v20, v24, v213
	v_mul_f32_e32 v21, 0x3fb8aa3b, v20
	v_ldexp_f32 v16, v27, v25
	v_fma_f32 v24, v20, s18, -v21
	v_rndne_f32_e32 v25, v21
	v_fmac_f32_e32 v24, 0x32a5705f, v20
	v_sub_f32_e32 v21, v21, v25
	v_add_f32_e32 v21, v21, v24
	v_exp_f32_e32 v21, v21
	v_cvt_i32_f32_e32 v24, v25
	v_cmp_ngt_f32_e32 vcc, s19, v23
	v_lshl_add_u64 v[28:29], v[84:85], 0, s[22:23]
	v_pk_mul_f16 v244, v17, v26
	v_cndmask_b32_e32 v16, 0, v16, vcc
	v_cmp_nlt_f32_e32 vcc, s20, v23
	v_lshl_add_u64 v[64:65], v[64:65], 0, s[46:47]
	v_lshl_add_u64 v[66:67], v[66:67], 0, s[46:47]
	v_cndmask_b32_e32 v23, v238, v16, vcc
	v_ldexp_f32 v16, v21, v24
	v_cmp_ngt_f32_e32 vcc, s19, v20
	v_lshl_add_u64 v[68:69], v[68:69], 0, s[50:51]
	v_lshl_add_u64 v[70:71], v[70:71], 0, s[50:51]
	v_cndmask_b32_e32 v16, 0, v16, vcc
	v_cmp_nlt_f32_e32 vcc, s20, v20
	v_cvt_f16_f32_e32 v20, v23
	v_lshl_add_u64 v[72:73], v[72:73], 0, s[52:53]
	v_cndmask_b32_e32 v211, v238, v16, vcc
	v_cvt_f16_f32_e32 v16, v211
	v_pk_fma_f32 v[58:59], v[58:59], v[22:23], v[210:211]
	v_lshl_add_u64 v[74:75], v[74:75], 0, s[52:53]
	v_lshl_add_u64 v[76:77], v[76:77], 0, s[52:53]
	ds_write_b16 v222, v16 offset:256
	v_mul_u32_u24_e32 v16, 0x10001, v20
	s_waitcnt vmcnt(3)
	v_ashrrev_i32_e32 v250, v234, v240
	v_lshl_add_u64 v[240:241], v[80:81], 0, s[22:23]
	v_pk_mul_f16 v245, v18, v16
	v_pk_mul_f16 v246, v19, v16
	ds_read_b128 v[36:39], v232
	ds_read_b128 v[24:27], v232 offset:16
	ds_read_b128 v[20:23], v232 offset:32
	;; [unrolled: 1-line block ×4, first 2 shown]
	global_load_dword v248, v[28:29], off
	v_and_b32_e32 v250, 0xf0f0f0f, v250
	global_load_dwordx2 v[240:241], v[240:241], off
	s_waitcnt vmcnt(4)
	v_lshrrev_b32_e32 v251, v233, v215
	v_lshlrev_b32_e32 v251, 4, v251
	v_and_or_b32 v250, v251, 16, v250
	v_lshrrev_b32_e32 v251, v235, v215
	v_lshrrev_b32_e32 v252, v236, v215
	;; [unrolled: 1-line block ×3, first 2 shown]
	v_lshlrev_b32_e32 v251, 12, v251
	v_lshlrev_b32_e32 v252, 20, v252
	;; [unrolled: 1-line block ×3, first 2 shown]
	v_and_or_b32 v251, v251, s4, v250
	v_and_b32_e32 v252, 0x100000, v252
	v_and_b32_e32 v215, 0x10000000, v215
	v_or3_b32 v215, v252, v215, v251
	v_lshrrev_b32_e32 v251, 8, v251
	v_and_b32_e32 v250, 31, v250
	v_and_b32_e32 v251, 31, v251
	v_cvt_f16_u16_e32 v250, v250
	v_cvt_f16_u16_e32 v251, v251
	v_pack_b32_f16 v250, v250, v251
	v_and_b32_sdwa v251, v215, v239 dst_sel:DWORD dst_unused:UNUSED_PAD src0_sel:WORD_1 src1_sel:DWORD
	v_cvt_f16_u16_sdwa v215, v215 dst_sel:DWORD dst_unused:UNUSED_PAD src0_sel:BYTE_3
	v_cvt_f16_u16_e32 v251, v251
	v_mul_u32_u24_sdwa v252, v214, s21 dst_sel:DWORD dst_unused:UNUSED_PAD src0_sel:WORD_0 src1_sel:DWORD
	v_mul_u32_u24_sdwa v214, v214, s21 dst_sel:DWORD dst_unused:UNUSED_PAD src0_sel:WORD_1 src1_sel:DWORD
	v_pack_b32_f16 v215, v251, v215
	s_waitcnt lgkmcnt(4)
	v_mul_u32_u24_sdwa v247, v36, s21 dst_sel:DWORD dst_unused:UNUSED_PAD src0_sel:WORD_0 src1_sel:DWORD
	s_waitcnt lgkmcnt(0)
	v_mul_u32_u24_sdwa v249, v32, s21 dst_sel:DWORD dst_unused:UNUSED_PAD src0_sel:WORD_0 src1_sel:DWORD
	v_pk_fma_f16 v250, v250, v252, v214
	v_pk_fma_f16 v214, v215, v252, v214
	;; [unrolled: 1-line block ×5, first 2 shown]
	v_lshl_add_u64 v[214:215], v[90:91], 0, s[22:23]
	global_load_dword v247, v[214:215], off
	v_lshl_add_u64 v[214:215], v[88:89], 0, s[22:23]
	v_pk_fma_f16 v245, v250, v249, v245
	s_waitcnt vmcnt(4)
	v_ashrrev_i32_e32 v242, v234, v242
	global_load_dwordx2 v[214:215], v[214:215], off
	s_waitcnt vmcnt(4)
	v_lshrrev_b32_e32 v249, v233, v217
	v_and_b32_e32 v242, 0xf0f0f0f, v242
	v_lshlrev_b32_e32 v249, 4, v249
	v_and_or_b32 v242, v249, 16, v242
	v_lshrrev_b32_e32 v249, v235, v217
	v_lshrrev_b32_e32 v250, v236, v217
	;; [unrolled: 1-line block ×3, first 2 shown]
	v_lshlrev_b32_e32 v249, 12, v249
	v_lshlrev_b32_e32 v250, 20, v250
	;; [unrolled: 1-line block ×3, first 2 shown]
	v_and_or_b32 v249, v249, s4, v242
	v_and_b32_e32 v250, 0x100000, v250
	v_and_b32_e32 v217, 0x10000000, v217
	v_or3_b32 v217, v250, v217, v249
	v_lshrrev_b32_e32 v249, 8, v249
	v_and_b32_e32 v242, 31, v242
	v_and_b32_e32 v249, 31, v249
	v_cvt_f16_u16_e32 v242, v242
	v_cvt_f16_u16_e32 v249, v249
	v_pack_b32_f16 v242, v242, v249
	v_and_b32_sdwa v249, v217, v239 dst_sel:DWORD dst_unused:UNUSED_PAD src0_sel:WORD_1 src1_sel:DWORD
	v_cvt_f16_u16_sdwa v217, v217 dst_sel:DWORD dst_unused:UNUSED_PAD src0_sel:BYTE_3
	v_cvt_f16_u16_e32 v249, v249
	v_mul_u32_u24_sdwa v250, v216, s21 dst_sel:DWORD dst_unused:UNUSED_PAD src0_sel:WORD_0 src1_sel:DWORD
	v_mul_u32_u24_sdwa v216, v216, s21 dst_sel:DWORD dst_unused:UNUSED_PAD src0_sel:WORD_1 src1_sel:DWORD
	v_pack_b32_f16 v217, v249, v217
	v_mul_u32_u24_sdwa v36, v36, s21 dst_sel:DWORD dst_unused:UNUSED_PAD src0_sel:WORD_1 src1_sel:DWORD
	v_mul_u32_u24_sdwa v32, v32, s21 dst_sel:DWORD dst_unused:UNUSED_PAD src0_sel:WORD_1 src1_sel:DWORD
	v_pk_fma_f16 v242, v242, v250, v216
	v_pk_fma_f16 v216, v217, v250, v216
	;; [unrolled: 1-line block ×6, first 2 shown]
	v_lshl_add_u64 v[216:217], v[94:95], 0, s[22:23]
	global_load_dword v245, v[216:217], off
	v_lshl_add_u64 v[216:217], v[92:93], 0, s[22:23]
	global_load_dwordx2 v[216:217], v[216:217], off
	v_mul_u32_u24_sdwa v244, v37, s21 dst_sel:DWORD dst_unused:UNUSED_PAD src0_sel:WORD_0 src1_sel:DWORD
	s_waitcnt vmcnt(5)
	v_ashrrev_i32_e32 v248, v234, v248
	v_and_b32_e32 v248, 0xf0f0f0f, v248
	s_waitcnt vmcnt(4)
	v_lshrrev_b32_e32 v249, v233, v241
	v_lshlrev_b32_e32 v249, 4, v249
	v_and_or_b32 v248, v249, 16, v248
	v_lshrrev_b32_e32 v249, v235, v241
	v_lshrrev_b32_e32 v250, v236, v241
	;; [unrolled: 1-line block ×3, first 2 shown]
	v_lshlrev_b32_e32 v249, 12, v249
	v_lshlrev_b32_e32 v250, 20, v250
	v_lshlrev_b32_e32 v241, 28, v241
	v_and_or_b32 v249, v249, s4, v248
	v_and_b32_e32 v250, 0x100000, v250
	v_and_b32_e32 v241, 0x10000000, v241
	v_or3_b32 v241, v250, v241, v249
	v_lshrrev_b32_e32 v249, 8, v249
	v_and_b32_e32 v248, 31, v248
	v_and_b32_e32 v249, 31, v249
	v_cvt_f16_u16_e32 v248, v248
	v_cvt_f16_u16_e32 v249, v249
	v_pack_b32_f16 v248, v248, v249
	v_and_b32_sdwa v249, v241, v239 dst_sel:DWORD dst_unused:UNUSED_PAD src0_sel:WORD_1 src1_sel:DWORD
	v_cvt_f16_u16_sdwa v241, v241 dst_sel:DWORD dst_unused:UNUSED_PAD src0_sel:BYTE_3
	v_cvt_f16_u16_e32 v249, v249
	v_mul_u32_u24_sdwa v250, v240, s21 dst_sel:DWORD dst_unused:UNUSED_PAD src0_sel:WORD_0 src1_sel:DWORD
	v_mul_u32_u24_sdwa v240, v240, s21 dst_sel:DWORD dst_unused:UNUSED_PAD src0_sel:WORD_1 src1_sel:DWORD
	v_pack_b32_f16 v241, v249, v241
	v_pk_fma_f16 v248, v248, v250, v240
	v_pk_fma_f16 v240, v241, v250, v240
	v_mul_u32_u24_sdwa v246, v33, s21 dst_sel:DWORD dst_unused:UNUSED_PAD src0_sel:WORD_0 src1_sel:DWORD
	v_pk_fma_f16 v241, v248, v244, v243
	v_pk_fma_f16 v243, v240, v244, v36
	v_mul_u32_u24_sdwa v244, v37, s21 dst_sel:DWORD dst_unused:UNUSED_PAD src0_sel:WORD_1 src1_sel:DWORD
	v_lshl_add_u64 v[36:37], v[98:99], 0, s[22:23]
	v_pk_fma_f16 v242, v248, v246, v242
	v_pk_fma_f16 v240, v240, v246, v32
	global_load_dword v246, v[36:37], off
	v_mul_u32_u24_sdwa v36, v33, s21 dst_sel:DWORD dst_unused:UNUSED_PAD src0_sel:WORD_1 src1_sel:DWORD
	v_lshl_add_u64 v[32:33], v[96:97], 0, s[22:23]
	global_load_dwordx2 v[32:33], v[32:33], off
	s_waitcnt vmcnt(5)
	v_ashrrev_i32_e32 v37, v234, v247
	s_waitcnt vmcnt(4)
	v_lshrrev_b32_e32 v247, v233, v215
	v_and_b32_e32 v37, 0xf0f0f0f, v37
	v_lshlrev_b32_e32 v247, 4, v247
	v_and_or_b32 v37, v247, 16, v37
	v_lshrrev_b32_e32 v247, v235, v215
	v_lshrrev_b32_e32 v248, v236, v215
	;; [unrolled: 1-line block ×3, first 2 shown]
	v_lshlrev_b32_e32 v247, 12, v247
	v_lshlrev_b32_e32 v248, 20, v248
	;; [unrolled: 1-line block ×3, first 2 shown]
	v_and_or_b32 v247, v247, s4, v37
	v_and_b32_e32 v248, 0x100000, v248
	v_and_b32_e32 v215, 0x10000000, v215
	v_or3_b32 v215, v248, v215, v247
	v_lshrrev_b32_e32 v247, 8, v247
	v_and_b32_e32 v37, 31, v37
	v_and_b32_e32 v247, 31, v247
	v_cvt_f16_u16_e32 v37, v37
	v_cvt_f16_u16_e32 v247, v247
	v_pack_b32_f16 v37, v37, v247
	v_and_b32_sdwa v247, v215, v239 dst_sel:DWORD dst_unused:UNUSED_PAD src0_sel:WORD_1 src1_sel:DWORD
	v_cvt_f16_u16_sdwa v215, v215 dst_sel:DWORD dst_unused:UNUSED_PAD src0_sel:BYTE_3
	v_cvt_f16_u16_e32 v247, v247
	v_mul_u32_u24_sdwa v248, v214, s21 dst_sel:DWORD dst_unused:UNUSED_PAD src0_sel:WORD_0 src1_sel:DWORD
	v_mul_u32_u24_sdwa v214, v214, s21 dst_sel:DWORD dst_unused:UNUSED_PAD src0_sel:WORD_1 src1_sel:DWORD
	v_pack_b32_f16 v215, v247, v215
	v_pk_fma_f16 v37, v37, v248, v214
	v_pk_fma_f16 v214, v215, v248, v214
	v_pk_fma_f16 v215, v37, v244, v241
	v_pk_fma_f16 v241, v37, v36, v242
	v_pk_fma_f16 v242, v214, v244, v243
	v_pk_fma_f16 v214, v214, v36, v240
	v_lshl_add_u64 v[36:37], v[106:107], 0, s[22:23]
	global_load_dword v243, v[36:37], off
	v_lshl_add_u64 v[36:37], v[102:103], 0, s[22:23]
	s_waitcnt vmcnt(4)
	v_ashrrev_i32_e32 v245, v234, v245
	global_load_dwordx2 v[36:37], v[36:37], off
	s_waitcnt vmcnt(4)
	v_lshrrev_b32_e32 v247, v233, v217
	v_and_b32_e32 v245, 0xf0f0f0f, v245
	v_lshlrev_b32_e32 v247, 4, v247
	v_and_or_b32 v245, v247, 16, v245
	v_lshrrev_b32_e32 v247, v235, v217
	v_lshrrev_b32_e32 v248, v236, v217
	;; [unrolled: 1-line block ×3, first 2 shown]
	v_lshlrev_b32_e32 v247, 12, v247
	v_lshlrev_b32_e32 v248, 20, v248
	;; [unrolled: 1-line block ×3, first 2 shown]
	v_and_or_b32 v247, v247, s4, v245
	v_and_b32_e32 v248, 0x100000, v248
	v_and_b32_e32 v217, 0x10000000, v217
	v_or3_b32 v217, v248, v217, v247
	v_lshrrev_b32_e32 v247, 8, v247
	v_and_b32_e32 v245, 31, v245
	v_and_b32_e32 v247, 31, v247
	v_cvt_f16_u16_e32 v245, v245
	v_cvt_f16_u16_e32 v247, v247
	v_pack_b32_f16 v245, v245, v247
	v_and_b32_sdwa v247, v217, v239 dst_sel:DWORD dst_unused:UNUSED_PAD src0_sel:WORD_1 src1_sel:DWORD
	v_cvt_f16_u16_sdwa v217, v217 dst_sel:DWORD dst_unused:UNUSED_PAD src0_sel:BYTE_3
	v_cvt_f16_u16_e32 v247, v247
	v_mul_u32_u24_sdwa v248, v216, s21 dst_sel:DWORD dst_unused:UNUSED_PAD src0_sel:WORD_0 src1_sel:DWORD
	v_mul_u32_u24_sdwa v216, v216, s21 dst_sel:DWORD dst_unused:UNUSED_PAD src0_sel:WORD_1 src1_sel:DWORD
	v_pack_b32_f16 v217, v247, v217
	v_mul_u32_u24_sdwa v240, v38, s21 dst_sel:DWORD dst_unused:UNUSED_PAD src0_sel:WORD_0 src1_sel:DWORD
	v_mul_u32_u24_sdwa v244, v34, s21 dst_sel:DWORD dst_unused:UNUSED_PAD src0_sel:WORD_0 src1_sel:DWORD
	v_pk_fma_f16 v245, v245, v248, v216
	v_pk_fma_f16 v216, v217, v248, v216
	;; [unrolled: 1-line block ×5, first 2 shown]
	v_lshl_add_u64 v[214:215], v[110:111], 0, s[22:23]
	global_load_dword v242, v[214:215], off
	v_lshl_add_u64 v[214:215], v[108:109], 0, s[22:23]
	v_pk_fma_f16 v241, v245, v244, v241
	global_load_dwordx2 v[214:215], v[214:215], off
	s_waitcnt vmcnt(5)
	v_ashrrev_i32_e32 v244, v234, v246
	v_and_b32_e32 v244, 0xf0f0f0f, v244
	v_mul_u32_u24_sdwa v38, v38, s21 dst_sel:DWORD dst_unused:UNUSED_PAD src0_sel:WORD_1 src1_sel:DWORD
	s_waitcnt vmcnt(4)
	v_lshrrev_b32_e32 v245, v233, v33
	v_lshlrev_b32_e32 v245, 4, v245
	v_and_or_b32 v244, v245, 16, v244
	v_lshrrev_b32_e32 v245, v235, v33
	v_lshrrev_b32_e32 v246, v236, v33
	;; [unrolled: 1-line block ×3, first 2 shown]
	v_lshlrev_b32_e32 v245, 12, v245
	v_lshlrev_b32_e32 v246, 20, v246
	;; [unrolled: 1-line block ×3, first 2 shown]
	v_and_or_b32 v245, v245, s4, v244
	v_and_b32_e32 v246, 0x100000, v246
	v_and_b32_e32 v33, 0x10000000, v33
	v_or3_b32 v33, v246, v33, v245
	v_lshrrev_b32_e32 v245, 8, v245
	v_and_b32_e32 v244, 31, v244
	v_and_b32_e32 v245, 31, v245
	v_cvt_f16_u16_e32 v244, v244
	v_cvt_f16_u16_e32 v245, v245
	v_pack_b32_f16 v244, v244, v245
	v_and_b32_sdwa v245, v33, v239 dst_sel:DWORD dst_unused:UNUSED_PAD src0_sel:WORD_1 src1_sel:DWORD
	v_cvt_f16_u16_sdwa v33, v33 dst_sel:DWORD dst_unused:UNUSED_PAD src0_sel:BYTE_3
	v_cvt_f16_u16_e32 v245, v245
	v_mul_u32_u24_sdwa v246, v32, s21 dst_sel:DWORD dst_unused:UNUSED_PAD src0_sel:WORD_0 src1_sel:DWORD
	v_mul_u32_u24_sdwa v32, v32, s21 dst_sel:DWORD dst_unused:UNUSED_PAD src0_sel:WORD_1 src1_sel:DWORD
	v_pack_b32_f16 v33, v245, v33
	v_mul_u32_u24_sdwa v34, v34, s21 dst_sel:DWORD dst_unused:UNUSED_PAD src0_sel:WORD_1 src1_sel:DWORD
	v_pk_fma_f16 v244, v244, v246, v32
	v_pk_fma_f16 v32, v33, v246, v32
	;; [unrolled: 1-line block ×6, first 2 shown]
	v_lshl_add_u64 v[32:33], v[114:115], 0, s[22:23]
	global_load_dword v240, v[32:33], off
	v_lshl_add_u64 v[32:33], v[112:113], 0, s[22:23]
	global_load_dwordx2 v[32:33], v[32:33], off
	s_waitcnt vmcnt(5)
	v_ashrrev_i32_e32 v243, v234, v243
	v_and_b32_e32 v243, 0xf0f0f0f, v243
	s_waitcnt vmcnt(4)
	v_lshrrev_b32_e32 v245, v233, v37
	v_lshlrev_b32_e32 v245, 4, v245
	v_and_or_b32 v243, v245, 16, v243
	v_lshrrev_b32_e32 v245, v235, v37
	v_lshrrev_b32_e32 v246, v236, v37
	;; [unrolled: 1-line block ×3, first 2 shown]
	v_lshlrev_b32_e32 v245, 12, v245
	v_lshlrev_b32_e32 v246, 20, v246
	;; [unrolled: 1-line block ×3, first 2 shown]
	v_and_or_b32 v245, v245, s4, v243
	v_and_b32_e32 v246, 0x100000, v246
	v_and_b32_e32 v37, 0x10000000, v37
	v_or3_b32 v37, v246, v37, v245
	v_lshrrev_b32_e32 v245, 8, v245
	v_and_b32_e32 v243, 31, v243
	v_and_b32_e32 v245, 31, v245
	v_cvt_f16_u16_e32 v243, v243
	v_cvt_f16_u16_e32 v245, v245
	v_pack_b32_f16 v243, v243, v245
	v_and_b32_sdwa v245, v37, v239 dst_sel:DWORD dst_unused:UNUSED_PAD src0_sel:WORD_1 src1_sel:DWORD
	v_cvt_f16_u16_sdwa v37, v37 dst_sel:DWORD dst_unused:UNUSED_PAD src0_sel:BYTE_3
	v_cvt_f16_u16_e32 v245, v245
	v_mul_u32_u24_sdwa v246, v36, s21 dst_sel:DWORD dst_unused:UNUSED_PAD src0_sel:WORD_0 src1_sel:DWORD
	v_mul_u32_u24_sdwa v36, v36, s21 dst_sel:DWORD dst_unused:UNUSED_PAD src0_sel:WORD_1 src1_sel:DWORD
	v_pack_b32_f16 v37, v245, v37
	v_mul_u32_u24_sdwa v216, v39, s21 dst_sel:DWORD dst_unused:UNUSED_PAD src0_sel:WORD_0 src1_sel:DWORD
	v_mul_u32_u24_sdwa v244, v35, s21 dst_sel:DWORD dst_unused:UNUSED_PAD src0_sel:WORD_0 src1_sel:DWORD
	v_pk_fma_f16 v243, v243, v246, v36
	v_pk_fma_f16 v36, v37, v246, v36
	;; [unrolled: 1-line block ×6, first 2 shown]
	v_lshl_add_u64 v[36:37], v[120:121], 0, s[22:23]
	v_mul_u32_u24_sdwa v244, v35, s21 dst_sel:DWORD dst_unused:UNUSED_PAD src0_sel:WORD_1 src1_sel:DWORD
	v_lshl_add_u64 v[34:35], v[116:117], 0, s[22:23]
	global_load_dword v243, v[36:37], off
	s_waitcnt vmcnt(4)
	v_ashrrev_i32_e32 v36, v234, v242
	global_load_dwordx2 v[34:35], v[34:35], off
	s_waitcnt vmcnt(4)
	v_lshrrev_b32_e32 v37, v233, v215
	v_and_b32_e32 v36, 0xf0f0f0f, v36
	v_lshlrev_b32_e32 v37, 4, v37
	v_and_or_b32 v36, v37, 16, v36
	v_lshrrev_b32_e32 v37, v235, v215
	v_lshrrev_b32_e32 v242, v236, v215
	;; [unrolled: 1-line block ×3, first 2 shown]
	v_lshlrev_b32_e32 v37, 12, v37
	v_lshlrev_b32_e32 v242, 20, v242
	;; [unrolled: 1-line block ×3, first 2 shown]
	v_and_or_b32 v37, v37, s4, v36
	v_and_b32_e32 v242, 0x100000, v242
	v_and_b32_e32 v215, 0x10000000, v215
	v_or3_b32 v215, v242, v215, v37
	v_lshrrev_b32_e32 v37, 8, v37
	v_and_b32_e32 v36, 31, v36
	v_and_b32_e32 v37, 31, v37
	v_cvt_f16_u16_e32 v36, v36
	v_cvt_f16_u16_e32 v37, v37
	v_pack_b32_f16 v36, v36, v37
	v_and_b32_sdwa v37, v215, v239 dst_sel:DWORD dst_unused:UNUSED_PAD src0_sel:WORD_1 src1_sel:DWORD
	v_mul_u32_u24_sdwa v242, v214, s21 dst_sel:DWORD dst_unused:UNUSED_PAD src0_sel:WORD_0 src1_sel:DWORD
	v_mul_u32_u24_sdwa v214, v214, s21 dst_sel:DWORD dst_unused:UNUSED_PAD src0_sel:WORD_1 src1_sel:DWORD
	v_cvt_f16_u16_sdwa v215, v215 dst_sel:DWORD dst_unused:UNUSED_PAD src0_sel:BYTE_3
	v_cvt_f16_u16_e32 v37, v37
	v_mul_u32_u24_sdwa v39, v39, s21 dst_sel:DWORD dst_unused:UNUSED_PAD src0_sel:WORD_1 src1_sel:DWORD
	v_pk_fma_f16 v36, v36, v242, v214
	v_pack_b32_f16 v37, v37, v215
	v_pk_fma_f16 v214, v37, v242, v214
	v_pk_fma_f16 v215, v36, v39, v217
	;; [unrolled: 1-line block ×3, first 2 shown]
	v_lshl_add_u64 v[36:37], v[130:131], 0, s[22:23]
	v_pk_fma_f16 v38, v214, v39, v38
	global_load_dword v39, v[36:37], off
	v_lshl_add_u64 v[36:37], v[124:125], 0, s[22:23]
	global_load_dwordx2 v[36:37], v[36:37], off
	s_waitcnt vmcnt(5)
	v_ashrrev_i32_e32 v240, v234, v240
	v_and_b32_e32 v240, 0xf0f0f0f, v240
	s_waitcnt vmcnt(4)
	v_lshrrev_b32_e32 v242, v233, v33
	v_lshlrev_b32_e32 v242, 4, v242
	v_pk_fma_f16 v214, v214, v244, v216
	v_and_or_b32 v240, v242, 16, v240
	v_lshrrev_b32_e32 v242, v235, v33
	v_lshrrev_b32_e32 v244, v236, v33
	;; [unrolled: 1-line block ×3, first 2 shown]
	v_lshlrev_b32_e32 v242, 12, v242
	v_lshlrev_b32_e32 v244, 20, v244
	;; [unrolled: 1-line block ×3, first 2 shown]
	v_and_or_b32 v242, v242, s4, v240
	v_and_b32_e32 v244, 0x100000, v244
	v_and_b32_e32 v33, 0x10000000, v33
	v_or3_b32 v33, v244, v33, v242
	v_lshrrev_b32_e32 v242, 8, v242
	v_and_b32_e32 v240, 31, v240
	v_and_b32_e32 v242, 31, v242
	v_cvt_f16_u16_e32 v240, v240
	v_cvt_f16_u16_e32 v242, v242
	v_pack_b32_f16 v240, v240, v242
	v_and_b32_sdwa v242, v33, v239 dst_sel:DWORD dst_unused:UNUSED_PAD src0_sel:WORD_1 src1_sel:DWORD
	v_cvt_f16_u16_sdwa v33, v33 dst_sel:DWORD dst_unused:UNUSED_PAD src0_sel:BYTE_3
	v_cvt_f16_u16_e32 v242, v242
	v_mul_u32_u24_sdwa v244, v32, s21 dst_sel:DWORD dst_unused:UNUSED_PAD src0_sel:WORD_0 src1_sel:DWORD
	v_mul_u32_u24_sdwa v32, v32, s21 dst_sel:DWORD dst_unused:UNUSED_PAD src0_sel:WORD_1 src1_sel:DWORD
	v_pack_b32_f16 v33, v242, v33
	v_mul_u32_u24_sdwa v216, v24, s21 dst_sel:DWORD dst_unused:UNUSED_PAD src0_sel:WORD_0 src1_sel:DWORD
	v_pk_fma_f16 v240, v240, v244, v32
	v_pk_fma_f16 v242, v33, v244, v32
	v_lshl_add_u64 v[32:33], v[142:143], 0, s[22:23]
	v_pk_fma_f16 v215, v240, v216, v215
	v_pk_fma_f16 v38, v242, v216, v38
	global_load_dword v216, v[32:33], off
	v_lshl_add_u64 v[32:33], v[136:137], 0, s[22:23]
	global_load_dwordx2 v[32:33], v[32:33], off
	ds_read_b128 v[28:31], v232 offset:272
	v_mul_u32_u24_sdwa v24, v24, s21 dst_sel:DWORD dst_unused:UNUSED_PAD src0_sel:WORD_1 src1_sel:DWORD
	v_lshl_add_u64 v[78:79], v[78:79], 0, s[52:53]
	v_lshl_add_u64 v[80:81], v[80:81], 0, s[52:53]
	;; [unrolled: 1-line block ×3, first 2 shown]
	s_waitcnt lgkmcnt(0)
	v_mul_u32_u24_sdwa v241, v28, s21 dst_sel:DWORD dst_unused:UNUSED_PAD src0_sel:WORD_0 src1_sel:DWORD
	v_pk_fma_f16 v217, v240, v241, v217
	v_pk_fma_f16 v214, v242, v241, v214
	s_waitcnt vmcnt(5)
	v_ashrrev_i32_e32 v240, v234, v243
	s_waitcnt vmcnt(4)
	v_lshrrev_b32_e32 v241, v233, v35
	v_and_b32_e32 v240, 0xf0f0f0f, v240
	v_lshlrev_b32_e32 v241, 4, v241
	v_and_or_b32 v240, v241, 16, v240
	v_lshrrev_b32_e32 v241, v235, v35
	v_lshrrev_b32_e32 v242, v236, v35
	;; [unrolled: 1-line block ×3, first 2 shown]
	v_lshlrev_b32_e32 v241, 12, v241
	v_lshlrev_b32_e32 v242, 20, v242
	;; [unrolled: 1-line block ×3, first 2 shown]
	v_and_or_b32 v241, v241, s4, v240
	v_and_b32_e32 v242, 0x100000, v242
	v_and_b32_e32 v35, 0x10000000, v35
	v_or3_b32 v35, v242, v35, v241
	v_lshrrev_b32_e32 v241, 8, v241
	v_and_b32_e32 v240, 31, v240
	v_and_b32_e32 v241, 31, v241
	v_cvt_f16_u16_e32 v240, v240
	v_cvt_f16_u16_e32 v241, v241
	v_pack_b32_f16 v240, v240, v241
	v_and_b32_sdwa v241, v35, v239 dst_sel:DWORD dst_unused:UNUSED_PAD src0_sel:WORD_1 src1_sel:DWORD
	v_cvt_f16_u16_sdwa v35, v35 dst_sel:DWORD dst_unused:UNUSED_PAD src0_sel:BYTE_3
	v_cvt_f16_u16_e32 v241, v241
	v_mul_u32_u24_sdwa v242, v34, s21 dst_sel:DWORD dst_unused:UNUSED_PAD src0_sel:WORD_0 src1_sel:DWORD
	v_mul_u32_u24_sdwa v34, v34, s21 dst_sel:DWORD dst_unused:UNUSED_PAD src0_sel:WORD_1 src1_sel:DWORD
	v_pack_b32_f16 v35, v241, v35
	v_mul_u32_u24_sdwa v28, v28, s21 dst_sel:DWORD dst_unused:UNUSED_PAD src0_sel:WORD_1 src1_sel:DWORD
	v_pk_fma_f16 v240, v240, v242, v34
	v_pk_fma_f16 v34, v35, v242, v34
	;; [unrolled: 1-line block ×6, first 2 shown]
	v_lshl_add_u64 v[34:35], v[154:155], 0, s[22:23]
	global_load_dword v240, v[34:35], off
	v_lshl_add_u64 v[34:35], v[148:149], 0, s[22:23]
	s_waitcnt vmcnt(4)
	v_ashrrev_i32_e32 v39, v234, v39
	global_load_dwordx2 v[34:35], v[34:35], off
	s_waitcnt vmcnt(4)
	v_lshrrev_b32_e32 v241, v233, v37
	v_and_b32_e32 v39, 0xf0f0f0f, v39
	v_lshlrev_b32_e32 v241, 4, v241
	v_and_or_b32 v39, v241, 16, v39
	v_lshrrev_b32_e32 v241, v235, v37
	v_lshrrev_b32_e32 v242, v236, v37
	;; [unrolled: 1-line block ×3, first 2 shown]
	v_lshlrev_b32_e32 v241, 12, v241
	v_lshlrev_b32_e32 v242, 20, v242
	;; [unrolled: 1-line block ×3, first 2 shown]
	v_and_or_b32 v241, v241, s4, v39
	v_and_b32_e32 v242, 0x100000, v242
	v_and_b32_e32 v37, 0x10000000, v37
	v_or3_b32 v37, v242, v37, v241
	v_lshrrev_b32_e32 v241, 8, v241
	v_and_b32_e32 v39, 31, v39
	v_and_b32_e32 v241, 31, v241
	v_cvt_f16_u16_e32 v39, v39
	v_cvt_f16_u16_e32 v241, v241
	v_pack_b32_f16 v39, v39, v241
	v_and_b32_sdwa v241, v37, v239 dst_sel:DWORD dst_unused:UNUSED_PAD src0_sel:WORD_1 src1_sel:DWORD
	v_cvt_f16_u16_sdwa v37, v37 dst_sel:DWORD dst_unused:UNUSED_PAD src0_sel:BYTE_3
	v_cvt_f16_u16_e32 v241, v241
	v_mul_u32_u24_sdwa v242, v36, s21 dst_sel:DWORD dst_unused:UNUSED_PAD src0_sel:WORD_0 src1_sel:DWORD
	v_mul_u32_u24_sdwa v36, v36, s21 dst_sel:DWORD dst_unused:UNUSED_PAD src0_sel:WORD_1 src1_sel:DWORD
	v_pack_b32_f16 v37, v241, v37
	v_mul_u32_u24_sdwa v38, v25, s21 dst_sel:DWORD dst_unused:UNUSED_PAD src0_sel:WORD_0 src1_sel:DWORD
	v_mul_u32_u24_sdwa v214, v29, s21 dst_sel:DWORD dst_unused:UNUSED_PAD src0_sel:WORD_0 src1_sel:DWORD
	v_pk_fma_f16 v39, v39, v242, v36
	v_pk_fma_f16 v36, v37, v242, v36
	;; [unrolled: 1-line block ×5, first 2 shown]
	v_mul_u32_u24_sdwa v28, v25, s21 dst_sel:DWORD dst_unused:UNUSED_PAD src0_sel:WORD_1 src1_sel:DWORD
	v_lshl_add_u64 v[24:25], v[166:167], 0, s[22:23]
	global_load_dword v215, v[24:25], off
	v_lshl_add_u64 v[24:25], v[160:161], 0, s[22:23]
	v_pk_fma_f16 v39, v39, v214, v217
	v_mul_u32_u24_sdwa v214, v29, s21 dst_sel:DWORD dst_unused:UNUSED_PAD src0_sel:WORD_1 src1_sel:DWORD
	s_waitcnt vmcnt(4)
	v_ashrrev_i32_e32 v29, v234, v216
	global_load_dwordx2 v[24:25], v[24:25], off
	s_waitcnt vmcnt(4)
	v_lshrrev_b32_e32 v216, v233, v33
	v_and_b32_e32 v29, 0xf0f0f0f, v29
	v_lshlrev_b32_e32 v216, 4, v216
	v_and_or_b32 v29, v216, 16, v29
	v_lshrrev_b32_e32 v216, v235, v33
	v_lshrrev_b32_e32 v217, v236, v33
	;; [unrolled: 1-line block ×3, first 2 shown]
	v_lshlrev_b32_e32 v216, 12, v216
	v_lshlrev_b32_e32 v217, 20, v217
	;; [unrolled: 1-line block ×3, first 2 shown]
	v_and_or_b32 v216, v216, s4, v29
	v_and_b32_e32 v217, 0x100000, v217
	v_and_b32_e32 v33, 0x10000000, v33
	v_or3_b32 v33, v217, v33, v216
	v_lshrrev_b32_e32 v216, 8, v216
	v_and_b32_e32 v29, 31, v29
	v_and_b32_e32 v216, 31, v216
	v_cvt_f16_u16_e32 v29, v29
	v_cvt_f16_u16_e32 v216, v216
	v_pack_b32_f16 v29, v29, v216
	v_and_b32_sdwa v216, v33, v239 dst_sel:DWORD dst_unused:UNUSED_PAD src0_sel:WORD_1 src1_sel:DWORD
	v_cvt_f16_u16_sdwa v33, v33 dst_sel:DWORD dst_unused:UNUSED_PAD src0_sel:BYTE_3
	v_cvt_f16_u16_e32 v216, v216
	v_mul_u32_u24_sdwa v217, v32, s21 dst_sel:DWORD dst_unused:UNUSED_PAD src0_sel:WORD_0 src1_sel:DWORD
	v_mul_u32_u24_sdwa v32, v32, s21 dst_sel:DWORD dst_unused:UNUSED_PAD src0_sel:WORD_1 src1_sel:DWORD
	v_pack_b32_f16 v33, v216, v33
	v_pk_fma_f16 v29, v29, v217, v32
	v_pk_fma_f16 v32, v33, v217, v32
	;; [unrolled: 1-line block ×5, first 2 shown]
	v_lshl_add_u64 v[28:29], v[178:179], 0, s[22:23]
	global_load_dword v39, v[28:29], off
	v_lshl_add_u64 v[28:29], v[172:173], 0, s[22:23]
	global_load_dwordx2 v[28:29], v[28:29], off
	s_waitcnt vmcnt(5)
	v_ashrrev_i32_e32 v216, v234, v240
	v_and_b32_e32 v216, 0xf0f0f0f, v216
	v_pk_fma_f16 v36, v32, v214, v36
	s_waitcnt vmcnt(4)
	v_lshrrev_b32_e32 v217, v233, v35
	v_lshlrev_b32_e32 v217, 4, v217
	v_and_or_b32 v216, v217, 16, v216
	v_lshrrev_b32_e32 v217, v235, v35
	v_lshrrev_b32_e32 v240, v236, v35
	;; [unrolled: 1-line block ×3, first 2 shown]
	v_lshlrev_b32_e32 v217, 12, v217
	v_lshlrev_b32_e32 v240, 20, v240
	;; [unrolled: 1-line block ×3, first 2 shown]
	v_and_or_b32 v217, v217, s4, v216
	v_and_b32_e32 v240, 0x100000, v240
	v_and_b32_e32 v35, 0x10000000, v35
	v_or3_b32 v35, v240, v35, v217
	v_lshrrev_b32_e32 v217, 8, v217
	v_and_b32_e32 v216, 31, v216
	v_and_b32_e32 v217, 31, v217
	v_cvt_f16_u16_e32 v216, v216
	v_cvt_f16_u16_e32 v217, v217
	v_pack_b32_f16 v216, v216, v217
	v_and_b32_sdwa v217, v35, v239 dst_sel:DWORD dst_unused:UNUSED_PAD src0_sel:WORD_1 src1_sel:DWORD
	v_cvt_f16_u16_sdwa v35, v35 dst_sel:DWORD dst_unused:UNUSED_PAD src0_sel:BYTE_3
	v_cvt_f16_u16_e32 v217, v217
	v_mul_u32_u24_sdwa v240, v34, s21 dst_sel:DWORD dst_unused:UNUSED_PAD src0_sel:WORD_0 src1_sel:DWORD
	v_mul_u32_u24_sdwa v34, v34, s21 dst_sel:DWORD dst_unused:UNUSED_PAD src0_sel:WORD_1 src1_sel:DWORD
	v_pack_b32_f16 v35, v217, v35
	v_mul_u32_u24_sdwa v32, v26, s21 dst_sel:DWORD dst_unused:UNUSED_PAD src0_sel:WORD_0 src1_sel:DWORD
	v_pk_fma_f16 v216, v216, v240, v34
	v_pk_fma_f16 v34, v35, v240, v34
	;; [unrolled: 1-line block ×4, first 2 shown]
	v_lshl_add_u64 v[32:33], v[190:191], 0, s[22:23]
	v_mul_u32_u24_sdwa v214, v30, s21 dst_sel:DWORD dst_unused:UNUSED_PAD src0_sel:WORD_0 src1_sel:DWORD
	global_load_dword v217, v[32:33], off
	v_lshl_add_u64 v[32:33], v[184:185], 0, s[22:23]
	v_pk_fma_f16 v216, v216, v214, v37
	v_pk_fma_f16 v34, v34, v214, v36
	global_load_dwordx2 v[36:37], v[32:33], off
	s_waitcnt vmcnt(5)
	v_ashrrev_i32_e32 v32, v234, v215
	v_and_b32_e32 v32, 0xf0f0f0f, v32
	v_mul_u32_u24_sdwa v26, v26, s21 dst_sel:DWORD dst_unused:UNUSED_PAD src0_sel:WORD_1 src1_sel:DWORD
	v_mul_u32_u24_sdwa v30, v30, s21 dst_sel:DWORD dst_unused:UNUSED_PAD src0_sel:WORD_1 src1_sel:DWORD
	s_waitcnt vmcnt(4)
	v_lshrrev_b32_e32 v33, v233, v25
	v_lshlrev_b32_e32 v33, 4, v33
	v_and_or_b32 v32, v33, 16, v32
	v_lshrrev_b32_e32 v33, v235, v25
	v_lshrrev_b32_e32 v214, v236, v25
	;; [unrolled: 1-line block ×3, first 2 shown]
	v_lshlrev_b32_e32 v33, 12, v33
	v_lshlrev_b32_e32 v214, 20, v214
	;; [unrolled: 1-line block ×3, first 2 shown]
	v_and_or_b32 v33, v33, s4, v32
	v_and_b32_e32 v214, 0x100000, v214
	v_and_b32_e32 v25, 0x10000000, v25
	v_or3_b32 v25, v214, v25, v33
	v_lshrrev_b32_e32 v33, 8, v33
	v_and_b32_e32 v32, 31, v32
	v_and_b32_e32 v33, 31, v33
	v_cvt_f16_u16_e32 v32, v32
	v_cvt_f16_u16_e32 v33, v33
	v_pack_b32_f16 v32, v32, v33
	v_and_b32_sdwa v33, v25, v239 dst_sel:DWORD dst_unused:UNUSED_PAD src0_sel:WORD_1 src1_sel:DWORD
	v_cvt_f16_u16_sdwa v25, v25 dst_sel:DWORD dst_unused:UNUSED_PAD src0_sel:BYTE_3
	v_cvt_f16_u16_e32 v33, v33
	v_mul_u32_u24_sdwa v214, v24, s21 dst_sel:DWORD dst_unused:UNUSED_PAD src0_sel:WORD_0 src1_sel:DWORD
	v_mul_u32_u24_sdwa v24, v24, s21 dst_sel:DWORD dst_unused:UNUSED_PAD src0_sel:WORD_1 src1_sel:DWORD
	v_pack_b32_f16 v25, v33, v25
	v_pk_fma_f16 v32, v32, v214, v24
	v_pk_fma_f16 v24, v25, v214, v24
	;; [unrolled: 1-line block ×6, first 2 shown]
	v_lshl_add_u64 v[24:25], v[202:203], 0, s[22:23]
	v_mul_u32_u24_sdwa v34, v27, s21 dst_sel:DWORD dst_unused:UNUSED_PAD src0_sel:WORD_0 src1_sel:DWORD
	s_waitcnt vmcnt(3)
	v_ashrrev_i32_e32 v32, v234, v39
	global_load_dword v39, v[24:25], off
	v_lshl_add_u64 v[24:25], v[196:197], 0, s[22:23]
	v_and_b32_e32 v215, 0xf0f0f0f, v32
	global_load_dwordx2 v[32:33], v[24:25], off
	s_waitcnt vmcnt(4)
	v_lshrrev_b32_e32 v216, v233, v29
	v_lshlrev_b32_e32 v24, 4, v216
	v_and_or_b32 v24, v24, 16, v215
	v_lshrrev_b32_e32 v25, v235, v29
	v_lshrrev_b32_e32 v215, v236, v29
	;; [unrolled: 1-line block ×3, first 2 shown]
	v_lshlrev_b32_e32 v25, 12, v25
	v_lshlrev_b32_e32 v215, 20, v215
	;; [unrolled: 1-line block ×3, first 2 shown]
	v_and_or_b32 v25, v25, s4, v24
	v_and_b32_e32 v215, 0x100000, v215
	v_and_b32_e32 v29, 0x10000000, v29
	v_or3_b32 v29, v215, v29, v25
	v_lshrrev_b32_e32 v25, 8, v25
	v_and_b32_e32 v24, 31, v24
	v_and_b32_e32 v25, 31, v25
	v_cvt_f16_u16_e32 v24, v24
	v_cvt_f16_u16_e32 v25, v25
	v_pack_b32_f16 v24, v24, v25
	v_and_b32_sdwa v25, v29, v239 dst_sel:DWORD dst_unused:UNUSED_PAD src0_sel:WORD_1 src1_sel:DWORD
	v_cvt_f16_u16_sdwa v29, v29 dst_sel:DWORD dst_unused:UNUSED_PAD src0_sel:BYTE_3
	v_cvt_f16_u16_e32 v25, v25
	v_mul_u32_u24_sdwa v215, v28, s21 dst_sel:DWORD dst_unused:UNUSED_PAD src0_sel:WORD_0 src1_sel:DWORD
	v_mul_u32_u24_sdwa v28, v28, s21 dst_sel:DWORD dst_unused:UNUSED_PAD src0_sel:WORD_1 src1_sel:DWORD
	v_pack_b32_f16 v25, v25, v29
	v_mul_u32_u24_sdwa v38, v31, s21 dst_sel:DWORD dst_unused:UNUSED_PAD src0_sel:WORD_0 src1_sel:DWORD
	v_pk_fma_f16 v24, v24, v215, v28
	v_pk_fma_f16 v25, v25, v215, v28
	;; [unrolled: 1-line block ×6, first 2 shown]
	v_lshl_add_u64 v[24:25], v[206:207], 0, s[22:23]
	s_waitcnt vmcnt(3)
	v_ashrrev_i32_e32 v34, v234, v217
	global_load_dword v38, v[24:25], off
	v_lshl_add_u64 v[24:25], v[208:209], 0, s[22:23]
	v_and_b32_e32 v214, 0xf0f0f0f, v34
	s_waitcnt vmcnt(3)
	v_lshrrev_b32_e32 v215, v233, v37
	global_load_dwordx2 v[34:35], v[24:25], off offset:-4
	v_lshlrev_b32_e32 v24, 4, v215
	v_and_or_b32 v24, v24, 16, v214
	v_lshrrev_b32_e32 v25, v235, v37
	v_lshrrev_b32_e32 v214, v236, v37
	;; [unrolled: 1-line block ×3, first 2 shown]
	v_lshlrev_b32_e32 v25, 12, v25
	v_lshlrev_b32_e32 v214, 20, v214
	;; [unrolled: 1-line block ×3, first 2 shown]
	v_and_or_b32 v25, v25, s4, v24
	v_and_b32_e32 v214, 0x100000, v214
	v_and_b32_e32 v37, 0x10000000, v37
	v_or3_b32 v37, v214, v37, v25
	v_lshrrev_b32_e32 v25, 8, v25
	v_and_b32_e32 v24, 31, v24
	v_and_b32_e32 v25, 31, v25
	v_cvt_f16_u16_e32 v24, v24
	v_cvt_f16_u16_e32 v25, v25
	v_pack_b32_f16 v24, v24, v25
	v_and_b32_sdwa v25, v37, v239 dst_sel:DWORD dst_unused:UNUSED_PAD src0_sel:WORD_1 src1_sel:DWORD
	v_cvt_f16_u16_sdwa v37, v37 dst_sel:DWORD dst_unused:UNUSED_PAD src0_sel:BYTE_3
	v_cvt_f16_u16_e32 v25, v25
	v_mul_u32_u24_sdwa v214, v36, s21 dst_sel:DWORD dst_unused:UNUSED_PAD src0_sel:WORD_0 src1_sel:DWORD
	v_mul_u32_u24_sdwa v36, v36, s21 dst_sel:DWORD dst_unused:UNUSED_PAD src0_sel:WORD_1 src1_sel:DWORD
	v_pack_b32_f16 v25, v25, v37
	v_mul_u32_u24_sdwa v27, v27, s21 dst_sel:DWORD dst_unused:UNUSED_PAD src0_sel:WORD_1 src1_sel:DWORD
	v_mul_u32_u24_sdwa v31, v31, s21 dst_sel:DWORD dst_unused:UNUSED_PAD src0_sel:WORD_1 src1_sel:DWORD
	v_pk_fma_f16 v24, v24, v214, v36
	v_pk_fma_f16 v25, v25, v214, v36
	;; [unrolled: 1-line block ×6, first 2 shown]
	v_lshl_add_u64 v[24:25], v[200:201], 0, s[22:23]
	v_lshl_add_u64 v[36:37], v[204:205], 0, s[22:23]
	global_load_dword v241, v[24:25], off
	ds_read_b128 v[28:31], v232 offset:288
	ds_read_b128 v[24:27], v232 offset:304
	s_waitcnt vmcnt(4)
	v_ashrrev_i32_e32 v39, v234, v39
	v_and_b32_e32 v39, 0xf0f0f0f, v39
	global_load_dwordx2 v[36:37], v[36:37], off offset:-4
	s_waitcnt vmcnt(4)
	v_lshrrev_b32_e32 v243, v233, v33
	v_lshlrev_b32_e32 v243, 4, v243
	v_and_or_b32 v39, v243, 16, v39
	v_lshrrev_b32_e32 v243, v235, v33
	v_lshrrev_b32_e32 v244, v236, v33
	;; [unrolled: 1-line block ×3, first 2 shown]
	v_lshlrev_b32_e32 v243, 12, v243
	v_lshlrev_b32_e32 v244, 20, v244
	;; [unrolled: 1-line block ×3, first 2 shown]
	v_and_or_b32 v243, v243, s4, v39
	v_and_b32_e32 v244, 0x100000, v244
	v_and_b32_e32 v33, 0x10000000, v33
	v_or3_b32 v33, v244, v33, v243
	v_lshrrev_b32_e32 v243, 8, v243
	v_and_b32_e32 v39, 31, v39
	v_and_b32_e32 v243, 31, v243
	v_cvt_f16_u16_e32 v39, v39
	v_cvt_f16_u16_e32 v243, v243
	v_pack_b32_f16 v39, v39, v243
	v_and_b32_sdwa v243, v33, v239 dst_sel:DWORD dst_unused:UNUSED_PAD src0_sel:WORD_1 src1_sel:DWORD
	v_cvt_f16_u16_sdwa v33, v33 dst_sel:DWORD dst_unused:UNUSED_PAD src0_sel:BYTE_3
	v_cvt_f16_u16_e32 v243, v243
	v_mul_u32_u24_sdwa v244, v32, s21 dst_sel:DWORD dst_unused:UNUSED_PAD src0_sel:WORD_0 src1_sel:DWORD
	v_mul_u32_u24_sdwa v32, v32, s21 dst_sel:DWORD dst_unused:UNUSED_PAD src0_sel:WORD_1 src1_sel:DWORD
	v_pack_b32_f16 v33, v243, v33
	v_mul_u32_u24_sdwa v240, v20, s21 dst_sel:DWORD dst_unused:UNUSED_PAD src0_sel:WORD_0 src1_sel:DWORD
	s_waitcnt lgkmcnt(1)
	v_mul_u32_u24_sdwa v242, v28, s21 dst_sel:DWORD dst_unused:UNUSED_PAD src0_sel:WORD_0 src1_sel:DWORD
	v_pk_fma_f16 v39, v39, v244, v32
	v_pk_fma_f16 v32, v33, v244, v32
	;; [unrolled: 1-line block ×6, first 2 shown]
	v_lshl_add_u64 v[32:33], v[194:195], 0, s[22:23]
	global_load_dword v217, v[32:33], off
	v_lshl_add_u64 v[32:33], v[198:199], 0, s[22:23]
	global_load_dwordx2 v[32:33], v[32:33], off offset:-4
	s_waitcnt vmcnt(5)
	v_ashrrev_i32_e32 v38, v234, v38
	v_and_b32_e32 v38, 0xf0f0f0f, v38
	s_waitcnt vmcnt(4)
	v_lshrrev_b32_e32 v240, v233, v35
	v_lshlrev_b32_e32 v240, 4, v240
	v_and_or_b32 v38, v240, 16, v38
	v_lshrrev_b32_e32 v240, v235, v35
	v_lshrrev_b32_e32 v242, v236, v35
	;; [unrolled: 1-line block ×3, first 2 shown]
	v_lshlrev_b32_e32 v240, 12, v240
	v_lshlrev_b32_e32 v242, 20, v242
	;; [unrolled: 1-line block ×3, first 2 shown]
	v_and_or_b32 v240, v240, s4, v38
	v_and_b32_e32 v242, 0x100000, v242
	v_and_b32_e32 v35, 0x10000000, v35
	v_or3_b32 v35, v242, v35, v240
	v_lshrrev_b32_e32 v240, 8, v240
	v_and_b32_e32 v38, 31, v38
	v_and_b32_e32 v240, 31, v240
	v_cvt_f16_u16_e32 v38, v38
	v_cvt_f16_u16_e32 v240, v240
	v_pack_b32_f16 v38, v38, v240
	v_and_b32_sdwa v240, v35, v239 dst_sel:DWORD dst_unused:UNUSED_PAD src0_sel:WORD_1 src1_sel:DWORD
	v_cvt_f16_u16_sdwa v35, v35 dst_sel:DWORD dst_unused:UNUSED_PAD src0_sel:BYTE_3
	v_cvt_f16_u16_e32 v240, v240
	v_mul_u32_u24_sdwa v242, v34, s21 dst_sel:DWORD dst_unused:UNUSED_PAD src0_sel:WORD_0 src1_sel:DWORD
	v_mul_u32_u24_sdwa v34, v34, s21 dst_sel:DWORD dst_unused:UNUSED_PAD src0_sel:WORD_1 src1_sel:DWORD
	v_pack_b32_f16 v35, v240, v35
	v_mul_u32_u24_sdwa v20, v20, s21 dst_sel:DWORD dst_unused:UNUSED_PAD src0_sel:WORD_1 src1_sel:DWORD
	v_mul_u32_u24_sdwa v28, v28, s21 dst_sel:DWORD dst_unused:UNUSED_PAD src0_sel:WORD_1 src1_sel:DWORD
	v_pk_fma_f16 v38, v38, v242, v34
	v_pk_fma_f16 v34, v35, v242, v34
	;; [unrolled: 1-line block ×6, first 2 shown]
	v_lshl_add_u64 v[34:35], v[188:189], 0, s[22:23]
	global_load_dword v215, v[34:35], off
	s_waitcnt vmcnt(4)
	v_ashrrev_i32_e32 v240, v234, v241
	v_lshl_add_u64 v[34:35], v[192:193], 0, s[22:23]
	global_load_dwordx2 v[34:35], v[34:35], off offset:-4
	v_and_b32_e32 v240, 0xf0f0f0f, v240
	v_mul_u32_u24_sdwa v39, v21, s21 dst_sel:DWORD dst_unused:UNUSED_PAD src0_sel:WORD_0 src1_sel:DWORD
	s_waitcnt vmcnt(4)
	v_lshrrev_b32_e32 v241, v233, v37
	v_lshlrev_b32_e32 v241, 4, v241
	v_and_or_b32 v240, v241, 16, v240
	v_lshrrev_b32_e32 v241, v235, v37
	v_lshrrev_b32_e32 v242, v236, v37
	v_lshrrev_b32_e32 v37, v237, v37
	v_lshlrev_b32_e32 v241, 12, v241
	v_lshlrev_b32_e32 v242, 20, v242
	;; [unrolled: 1-line block ×3, first 2 shown]
	v_and_or_b32 v241, v241, s4, v240
	v_and_b32_e32 v242, 0x100000, v242
	v_and_b32_e32 v37, 0x10000000, v37
	v_or3_b32 v37, v242, v37, v241
	v_lshrrev_b32_e32 v241, 8, v241
	v_and_b32_e32 v240, 31, v240
	v_and_b32_e32 v241, 31, v241
	v_cvt_f16_u16_e32 v240, v240
	v_cvt_f16_u16_e32 v241, v241
	v_pack_b32_f16 v240, v240, v241
	v_and_b32_sdwa v241, v37, v239 dst_sel:DWORD dst_unused:UNUSED_PAD src0_sel:WORD_1 src1_sel:DWORD
	v_cvt_f16_u16_sdwa v37, v37 dst_sel:DWORD dst_unused:UNUSED_PAD src0_sel:BYTE_3
	v_cvt_f16_u16_e32 v241, v241
	v_mul_u32_u24_sdwa v242, v36, s21 dst_sel:DWORD dst_unused:UNUSED_PAD src0_sel:WORD_0 src1_sel:DWORD
	v_mul_u32_u24_sdwa v36, v36, s21 dst_sel:DWORD dst_unused:UNUSED_PAD src0_sel:WORD_1 src1_sel:DWORD
	v_pack_b32_f16 v37, v241, v37
	v_mul_u32_u24_sdwa v216, v29, s21 dst_sel:DWORD dst_unused:UNUSED_PAD src0_sel:WORD_0 src1_sel:DWORD
	v_pk_fma_f16 v240, v240, v242, v36
	v_pk_fma_f16 v36, v37, v242, v36
	v_pk_fma_f16 v37, v240, v39, v214
	v_pk_fma_f16 v38, v240, v216, v38
	v_pk_fma_f16 v39, v36, v39, v20
	v_pk_fma_f16 v28, v36, v216, v28
	v_mul_u32_u24_sdwa v36, v21, s21 dst_sel:DWORD dst_unused:UNUSED_PAD src0_sel:WORD_1 src1_sel:DWORD
	v_lshl_add_u64 v[20:21], v[182:183], 0, s[22:23]
	global_load_dword v214, v[20:21], off
	s_waitcnt vmcnt(4)
	v_ashrrev_i32_e32 v216, v234, v217
	v_lshl_add_u64 v[20:21], v[186:187], 0, s[22:23]
	s_waitcnt vmcnt(3)
	v_lshrrev_b32_e32 v217, v233, v33
	v_and_b32_e32 v216, 0xf0f0f0f, v216
	v_lshlrev_b32_e32 v217, 4, v217
	global_load_dwordx2 v[20:21], v[20:21], off offset:-4
	v_and_or_b32 v216, v217, 16, v216
	v_lshrrev_b32_e32 v217, v235, v33
	v_lshrrev_b32_e32 v240, v236, v33
	v_lshrrev_b32_e32 v33, v237, v33
	v_lshlrev_b32_e32 v217, 12, v217
	v_lshlrev_b32_e32 v240, 20, v240
	;; [unrolled: 1-line block ×3, first 2 shown]
	v_and_or_b32 v217, v217, s4, v216
	v_and_b32_e32 v240, 0x100000, v240
	v_and_b32_e32 v33, 0x10000000, v33
	v_or3_b32 v33, v240, v33, v217
	v_lshrrev_b32_e32 v217, 8, v217
	v_and_b32_e32 v216, 31, v216
	v_and_b32_e32 v217, 31, v217
	v_cvt_f16_u16_e32 v216, v216
	v_cvt_f16_u16_e32 v217, v217
	v_pack_b32_f16 v216, v216, v217
	v_and_b32_sdwa v217, v33, v239 dst_sel:DWORD dst_unused:UNUSED_PAD src0_sel:WORD_1 src1_sel:DWORD
	v_cvt_f16_u16_sdwa v33, v33 dst_sel:DWORD dst_unused:UNUSED_PAD src0_sel:BYTE_3
	v_cvt_f16_u16_e32 v217, v217
	v_mul_u32_u24_sdwa v240, v32, s21 dst_sel:DWORD dst_unused:UNUSED_PAD src0_sel:WORD_0 src1_sel:DWORD
	v_mul_u32_u24_sdwa v32, v32, s21 dst_sel:DWORD dst_unused:UNUSED_PAD src0_sel:WORD_1 src1_sel:DWORD
	v_pack_b32_f16 v33, v217, v33
	v_mul_u32_u24_sdwa v29, v29, s21 dst_sel:DWORD dst_unused:UNUSED_PAD src0_sel:WORD_1 src1_sel:DWORD
	v_pk_fma_f16 v216, v216, v240, v32
	v_pk_fma_f16 v32, v33, v240, v32
	;; [unrolled: 1-line block ×6, first 2 shown]
	v_lshl_add_u64 v[28:29], v[176:177], 0, s[22:23]
	global_load_dword v39, v[28:29], off
	v_lshl_add_u64 v[28:29], v[180:181], 0, s[22:23]
	global_load_dwordx2 v[28:29], v[28:29], off offset:-4
	s_waitcnt vmcnt(5)
	v_ashrrev_i32_e32 v215, v234, v215
	v_and_b32_e32 v215, 0xf0f0f0f, v215
	s_waitcnt vmcnt(4)
	v_lshrrev_b32_e32 v217, v233, v35
	v_lshlrev_b32_e32 v217, 4, v217
	v_and_or_b32 v215, v217, 16, v215
	v_lshrrev_b32_e32 v217, v235, v35
	v_lshrrev_b32_e32 v240, v236, v35
	;; [unrolled: 1-line block ×3, first 2 shown]
	v_lshlrev_b32_e32 v217, 12, v217
	v_lshlrev_b32_e32 v240, 20, v240
	;; [unrolled: 1-line block ×3, first 2 shown]
	v_and_or_b32 v217, v217, s4, v215
	v_and_b32_e32 v240, 0x100000, v240
	v_and_b32_e32 v35, 0x10000000, v35
	v_or3_b32 v35, v240, v35, v217
	v_lshrrev_b32_e32 v217, 8, v217
	v_and_b32_e32 v215, 31, v215
	v_and_b32_e32 v217, 31, v217
	v_cvt_f16_u16_e32 v215, v215
	v_cvt_f16_u16_e32 v217, v217
	v_pack_b32_f16 v215, v215, v217
	v_and_b32_sdwa v217, v35, v239 dst_sel:DWORD dst_unused:UNUSED_PAD src0_sel:WORD_1 src1_sel:DWORD
	v_cvt_f16_u16_sdwa v35, v35 dst_sel:DWORD dst_unused:UNUSED_PAD src0_sel:BYTE_3
	v_cvt_f16_u16_e32 v217, v217
	v_mul_u32_u24_sdwa v240, v34, s21 dst_sel:DWORD dst_unused:UNUSED_PAD src0_sel:WORD_0 src1_sel:DWORD
	v_mul_u32_u24_sdwa v34, v34, s21 dst_sel:DWORD dst_unused:UNUSED_PAD src0_sel:WORD_1 src1_sel:DWORD
	v_pack_b32_f16 v35, v217, v35
	v_mul_u32_u24_sdwa v38, v22, s21 dst_sel:DWORD dst_unused:UNUSED_PAD src0_sel:WORD_0 src1_sel:DWORD
	v_mul_u32_u24_sdwa v216, v30, s21 dst_sel:DWORD dst_unused:UNUSED_PAD src0_sel:WORD_0 src1_sel:DWORD
	v_pk_fma_f16 v215, v215, v240, v34
	v_pk_fma_f16 v34, v35, v240, v34
	;; [unrolled: 1-line block ×5, first 2 shown]
	v_lshl_add_u64 v[32:33], v[170:171], 0, s[22:23]
	v_pk_fma_f16 v37, v215, v216, v37
	global_load_dword v38, v[32:33], off
	v_lshl_add_u64 v[32:33], v[174:175], 0, s[22:23]
	global_load_dwordx2 v[32:33], v[32:33], off offset:-4
	s_waitcnt vmcnt(5)
	v_ashrrev_i32_e32 v214, v234, v214
	v_and_b32_e32 v214, 0xf0f0f0f, v214
	v_mul_u32_u24_sdwa v22, v22, s21 dst_sel:DWORD dst_unused:UNUSED_PAD src0_sel:WORD_1 src1_sel:DWORD
	v_mul_u32_u24_sdwa v30, v30, s21 dst_sel:DWORD dst_unused:UNUSED_PAD src0_sel:WORD_1 src1_sel:DWORD
	v_lshl_add_u64 v[84:85], v[84:85], 0, s[52:53]
	v_lshl_add_u64 v[86:87], v[86:87], 0, s[50:51]
	s_waitcnt vmcnt(4)
	v_lshrrev_b32_e32 v215, v233, v21
	v_lshlrev_b32_e32 v215, 4, v215
	v_and_or_b32 v214, v215, 16, v214
	v_lshrrev_b32_e32 v215, v235, v21
	v_lshrrev_b32_e32 v216, v236, v21
	;; [unrolled: 1-line block ×3, first 2 shown]
	v_lshlrev_b32_e32 v215, 12, v215
	v_lshlrev_b32_e32 v216, 20, v216
	;; [unrolled: 1-line block ×3, first 2 shown]
	v_and_or_b32 v215, v215, s4, v214
	v_and_b32_e32 v216, 0x100000, v216
	v_and_b32_e32 v21, 0x10000000, v21
	v_or3_b32 v21, v216, v21, v215
	v_lshrrev_b32_e32 v215, 8, v215
	v_and_b32_e32 v214, 31, v214
	v_and_b32_e32 v215, 31, v215
	v_cvt_f16_u16_e32 v214, v214
	v_cvt_f16_u16_e32 v215, v215
	v_pack_b32_f16 v214, v214, v215
	v_and_b32_sdwa v215, v21, v239 dst_sel:DWORD dst_unused:UNUSED_PAD src0_sel:WORD_1 src1_sel:DWORD
	v_cvt_f16_u16_sdwa v21, v21 dst_sel:DWORD dst_unused:UNUSED_PAD src0_sel:BYTE_3
	v_cvt_f16_u16_e32 v215, v215
	v_mul_u32_u24_sdwa v216, v20, s21 dst_sel:DWORD dst_unused:UNUSED_PAD src0_sel:WORD_0 src1_sel:DWORD
	v_mul_u32_u24_sdwa v20, v20, s21 dst_sel:DWORD dst_unused:UNUSED_PAD src0_sel:WORD_1 src1_sel:DWORD
	v_pack_b32_f16 v21, v215, v21
	v_pk_fma_f16 v214, v214, v216, v20
	v_pk_fma_f16 v20, v21, v216, v20
	;; [unrolled: 1-line block ×6, first 2 shown]
	v_lshl_add_u64 v[20:21], v[164:165], 0, s[22:23]
	s_waitcnt vmcnt(3)
	v_ashrrev_i32_e32 v39, v234, v39
	global_load_dword v36, v[20:21], off
	s_waitcnt vmcnt(3)
	v_lshrrev_b32_e32 v215, v233, v29
	v_lshl_add_u64 v[20:21], v[168:169], 0, s[22:23]
	v_and_b32_e32 v39, 0xf0f0f0f, v39
	v_lshlrev_b32_e32 v215, 4, v215
	global_load_dwordx2 v[20:21], v[20:21], off offset:-4
	v_and_or_b32 v39, v215, 16, v39
	v_lshrrev_b32_e32 v215, v235, v29
	v_lshrrev_b32_e32 v216, v236, v29
	;; [unrolled: 1-line block ×3, first 2 shown]
	v_lshlrev_b32_e32 v215, 12, v215
	v_lshlrev_b32_e32 v216, 20, v216
	;; [unrolled: 1-line block ×3, first 2 shown]
	v_and_or_b32 v215, v215, s4, v39
	v_and_b32_e32 v216, 0x100000, v216
	v_and_b32_e32 v29, 0x10000000, v29
	v_or3_b32 v29, v216, v29, v215
	v_lshrrev_b32_e32 v215, 8, v215
	v_and_b32_e32 v39, 31, v39
	v_and_b32_e32 v215, 31, v215
	v_cvt_f16_u16_e32 v39, v39
	v_cvt_f16_u16_e32 v215, v215
	v_pack_b32_f16 v39, v39, v215
	v_and_b32_sdwa v215, v29, v239 dst_sel:DWORD dst_unused:UNUSED_PAD src0_sel:WORD_1 src1_sel:DWORD
	v_cvt_f16_u16_sdwa v29, v29 dst_sel:DWORD dst_unused:UNUSED_PAD src0_sel:BYTE_3
	v_cvt_f16_u16_e32 v215, v215
	v_mul_u32_u24_sdwa v216, v28, s21 dst_sel:DWORD dst_unused:UNUSED_PAD src0_sel:WORD_0 src1_sel:DWORD
	v_mul_u32_u24_sdwa v28, v28, s21 dst_sel:DWORD dst_unused:UNUSED_PAD src0_sel:WORD_1 src1_sel:DWORD
	v_pack_b32_f16 v29, v215, v29
	v_mul_u32_u24_sdwa v34, v23, s21 dst_sel:DWORD dst_unused:UNUSED_PAD src0_sel:WORD_0 src1_sel:DWORD
	v_mul_u32_u24_sdwa v214, v31, s21 dst_sel:DWORD dst_unused:UNUSED_PAD src0_sel:WORD_0 src1_sel:DWORD
	v_pk_fma_f16 v39, v39, v216, v28
	v_pk_fma_f16 v28, v29, v216, v28
	;; [unrolled: 1-line block ×5, first 2 shown]
	v_mul_u32_u24_sdwa v28, v23, s21 dst_sel:DWORD dst_unused:UNUSED_PAD src0_sel:WORD_1 src1_sel:DWORD
	v_lshl_add_u64 v[22:23], v[158:159], 0, s[22:23]
	v_pk_fma_f16 v35, v39, v214, v37
	global_load_dword v37, v[22:23], off
	v_lshl_add_u64 v[22:23], v[162:163], 0, s[22:23]
	global_load_dwordx2 v[22:23], v[22:23], off offset:-4
	s_waitcnt vmcnt(5)
	v_ashrrev_i32_e32 v38, v234, v38
	s_waitcnt vmcnt(4)
	v_lshrrev_b32_e32 v39, v233, v33
	v_and_b32_e32 v38, 0xf0f0f0f, v38
	v_lshlrev_b32_e32 v39, 4, v39
	v_and_or_b32 v38, v39, 16, v38
	v_lshrrev_b32_e32 v39, v235, v33
	v_lshrrev_b32_e32 v214, v236, v33
	;; [unrolled: 1-line block ×3, first 2 shown]
	v_lshlrev_b32_e32 v39, 12, v39
	v_lshlrev_b32_e32 v214, 20, v214
	;; [unrolled: 1-line block ×3, first 2 shown]
	v_and_or_b32 v39, v39, s4, v38
	v_and_b32_e32 v214, 0x100000, v214
	v_and_b32_e32 v33, 0x10000000, v33
	v_or3_b32 v33, v214, v33, v39
	v_lshrrev_b32_e32 v39, 8, v39
	v_and_b32_e32 v38, 31, v38
	v_and_b32_e32 v39, 31, v39
	v_cvt_f16_u16_e32 v38, v38
	v_cvt_f16_u16_e32 v39, v39
	v_pack_b32_f16 v38, v38, v39
	v_and_b32_sdwa v39, v33, v239 dst_sel:DWORD dst_unused:UNUSED_PAD src0_sel:WORD_1 src1_sel:DWORD
	v_cvt_f16_u16_sdwa v33, v33 dst_sel:DWORD dst_unused:UNUSED_PAD src0_sel:BYTE_3
	v_cvt_f16_u16_e32 v39, v39
	v_mul_u32_u24_sdwa v214, v32, s21 dst_sel:DWORD dst_unused:UNUSED_PAD src0_sel:WORD_0 src1_sel:DWORD
	v_mul_u32_u24_sdwa v32, v32, s21 dst_sel:DWORD dst_unused:UNUSED_PAD src0_sel:WORD_1 src1_sel:DWORD
	v_pack_b32_f16 v33, v39, v33
	v_pk_fma_f16 v38, v38, v214, v32
	v_pk_fma_f16 v32, v33, v214, v32
	v_mul_u32_u24_sdwa v31, v31, s21 dst_sel:DWORD dst_unused:UNUSED_PAD src0_sel:WORD_1 src1_sel:DWORD
	v_pk_fma_f16 v33, v38, v28, v29
	v_pk_fma_f16 v34, v32, v28, v34
	v_lshl_add_u64 v[28:29], v[152:153], 0, s[22:23]
	v_pk_fma_f16 v35, v38, v31, v35
	global_load_dword v38, v[28:29], off
	v_lshl_add_u64 v[28:29], v[156:157], 0, s[22:23]
	global_load_dwordx2 v[28:29], v[28:29], off offset:-4
	v_pk_fma_f16 v30, v32, v31, v30
	s_waitcnt vmcnt(5)
	v_ashrrev_i32_e32 v36, v234, v36
	v_and_b32_e32 v36, 0xf0f0f0f, v36
	v_mul_u32_u24_sdwa v31, v16, s21 dst_sel:DWORD dst_unused:UNUSED_PAD src0_sel:WORD_0 src1_sel:DWORD
	s_waitcnt lgkmcnt(0)
	v_mul_u32_u24_sdwa v32, v24, s21 dst_sel:DWORD dst_unused:UNUSED_PAD src0_sel:WORD_0 src1_sel:DWORD
	v_mul_u32_u24_sdwa v16, v16, s21 dst_sel:DWORD dst_unused:UNUSED_PAD src0_sel:WORD_1 src1_sel:DWORD
	s_waitcnt vmcnt(4)
	v_lshrrev_b32_e32 v39, v233, v21
	v_lshlrev_b32_e32 v39, 4, v39
	v_and_or_b32 v36, v39, 16, v36
	v_lshrrev_b32_e32 v39, v235, v21
	v_lshrrev_b32_e32 v214, v236, v21
	;; [unrolled: 1-line block ×3, first 2 shown]
	v_lshlrev_b32_e32 v39, 12, v39
	v_lshlrev_b32_e32 v214, 20, v214
	v_lshlrev_b32_e32 v21, 28, v21
	v_and_or_b32 v39, v39, s4, v36
	v_and_b32_e32 v214, 0x100000, v214
	v_and_b32_e32 v21, 0x10000000, v21
	v_or3_b32 v21, v214, v21, v39
	v_lshrrev_b32_e32 v39, 8, v39
	v_and_b32_e32 v36, 31, v36
	v_and_b32_e32 v39, 31, v39
	v_cvt_f16_u16_e32 v36, v36
	v_cvt_f16_u16_e32 v39, v39
	v_pack_b32_f16 v36, v36, v39
	v_and_b32_sdwa v39, v21, v239 dst_sel:DWORD dst_unused:UNUSED_PAD src0_sel:WORD_1 src1_sel:DWORD
	v_cvt_f16_u16_sdwa v21, v21 dst_sel:DWORD dst_unused:UNUSED_PAD src0_sel:BYTE_3
	v_cvt_f16_u16_e32 v39, v39
	v_mul_u32_u24_sdwa v214, v20, s21 dst_sel:DWORD dst_unused:UNUSED_PAD src0_sel:WORD_0 src1_sel:DWORD
	v_mul_u32_u24_sdwa v20, v20, s21 dst_sel:DWORD dst_unused:UNUSED_PAD src0_sel:WORD_1 src1_sel:DWORD
	v_pack_b32_f16 v21, v39, v21
	v_pk_fma_f16 v36, v36, v214, v20
	v_pk_fma_f16 v39, v21, v214, v20
	;; [unrolled: 1-line block ×4, first 2 shown]
	v_lshl_add_u64 v[20:21], v[146:147], 0, s[22:23]
	v_pk_fma_f16 v30, v39, v32, v30
	v_pk_fma_f16 v31, v39, v31, v34
	global_load_dword v34, v[20:21], off
	v_lshl_add_u64 v[20:21], v[150:151], 0, s[22:23]
	s_waitcnt vmcnt(4)
	v_ashrrev_i32_e32 v32, v234, v37
	v_and_b32_e32 v32, 0xf0f0f0f, v32
	s_waitcnt vmcnt(3)
	v_lshrrev_b32_e32 v36, v233, v23
	v_lshlrev_b32_e32 v36, 4, v36
	global_load_dwordx2 v[20:21], v[20:21], off offset:-4
	v_and_or_b32 v32, v36, 16, v32
	v_lshrrev_b32_e32 v36, v235, v23
	v_lshrrev_b32_e32 v37, v236, v23
	;; [unrolled: 1-line block ×3, first 2 shown]
	v_lshlrev_b32_e32 v36, 12, v36
	v_lshlrev_b32_e32 v37, 20, v37
	;; [unrolled: 1-line block ×3, first 2 shown]
	v_and_or_b32 v36, v36, s4, v32
	v_and_b32_e32 v37, 0x100000, v37
	v_and_b32_e32 v23, 0x10000000, v23
	v_or3_b32 v23, v37, v23, v36
	v_lshrrev_b32_e32 v36, 8, v36
	v_and_b32_e32 v32, 31, v32
	v_and_b32_e32 v36, 31, v36
	v_cvt_f16_u16_e32 v32, v32
	v_cvt_f16_u16_e32 v36, v36
	v_pack_b32_f16 v32, v32, v36
	v_and_b32_sdwa v36, v23, v239 dst_sel:DWORD dst_unused:UNUSED_PAD src0_sel:WORD_1 src1_sel:DWORD
	v_cvt_f16_u16_sdwa v23, v23 dst_sel:DWORD dst_unused:UNUSED_PAD src0_sel:BYTE_3
	v_cvt_f16_u16_e32 v36, v36
	v_mul_u32_u24_sdwa v37, v22, s21 dst_sel:DWORD dst_unused:UNUSED_PAD src0_sel:WORD_0 src1_sel:DWORD
	v_mul_u32_u24_sdwa v22, v22, s21 dst_sel:DWORD dst_unused:UNUSED_PAD src0_sel:WORD_1 src1_sel:DWORD
	v_pack_b32_f16 v23, v36, v23
	v_mul_u32_u24_sdwa v24, v24, s21 dst_sel:DWORD dst_unused:UNUSED_PAD src0_sel:WORD_1 src1_sel:DWORD
	v_pk_fma_f16 v32, v32, v37, v22
	v_pk_fma_f16 v22, v23, v37, v22
	;; [unrolled: 1-line block ×6, first 2 shown]
	v_lshl_add_u64 v[22:23], v[140:141], 0, s[22:23]
	global_load_dword v36, v[22:23], off
	v_lshl_add_u64 v[22:23], v[144:145], 0, s[22:23]
	global_load_dwordx2 v[22:23], v[22:23], off offset:-4
	s_waitcnt vmcnt(5)
	v_ashrrev_i32_e32 v35, v234, v38
	s_waitcnt vmcnt(4)
	v_lshrrev_b32_e32 v37, v233, v29
	v_and_b32_e32 v35, 0xf0f0f0f, v35
	v_lshlrev_b32_e32 v37, 4, v37
	v_and_or_b32 v35, v37, 16, v35
	v_lshrrev_b32_e32 v37, v235, v29
	v_lshrrev_b32_e32 v38, v236, v29
	v_lshrrev_b32_e32 v29, v237, v29
	v_lshlrev_b32_e32 v37, 12, v37
	v_lshlrev_b32_e32 v38, 20, v38
	;; [unrolled: 1-line block ×3, first 2 shown]
	v_and_or_b32 v37, v37, s4, v35
	v_and_b32_e32 v38, 0x100000, v38
	v_and_b32_e32 v29, 0x10000000, v29
	v_or3_b32 v29, v38, v29, v37
	v_lshrrev_b32_e32 v37, 8, v37
	v_and_b32_e32 v35, 31, v35
	v_and_b32_e32 v37, 31, v37
	v_cvt_f16_u16_e32 v35, v35
	v_cvt_f16_u16_e32 v37, v37
	v_pack_b32_f16 v35, v35, v37
	v_and_b32_sdwa v37, v29, v239 dst_sel:DWORD dst_unused:UNUSED_PAD src0_sel:WORD_1 src1_sel:DWORD
	v_cvt_f16_u16_sdwa v29, v29 dst_sel:DWORD dst_unused:UNUSED_PAD src0_sel:BYTE_3
	v_cvt_f16_u16_e32 v37, v37
	v_mul_u32_u24_sdwa v38, v28, s21 dst_sel:DWORD dst_unused:UNUSED_PAD src0_sel:WORD_0 src1_sel:DWORD
	v_mul_u32_u24_sdwa v28, v28, s21 dst_sel:DWORD dst_unused:UNUSED_PAD src0_sel:WORD_1 src1_sel:DWORD
	v_pack_b32_f16 v29, v37, v29
	v_mul_u32_u24_sdwa v30, v17, s21 dst_sel:DWORD dst_unused:UNUSED_PAD src0_sel:WORD_0 src1_sel:DWORD
	v_mul_u32_u24_sdwa v31, v25, s21 dst_sel:DWORD dst_unused:UNUSED_PAD src0_sel:WORD_0 src1_sel:DWORD
	v_pk_fma_f16 v35, v35, v38, v28
	v_pk_fma_f16 v28, v29, v38, v28
	;; [unrolled: 1-line block ×5, first 2 shown]
	v_mul_u32_u24_sdwa v28, v17, s21 dst_sel:DWORD dst_unused:UNUSED_PAD src0_sel:WORD_1 src1_sel:DWORD
	v_lshl_add_u64 v[16:17], v[134:135], 0, s[22:23]
	v_pk_fma_f16 v32, v35, v31, v32
	global_load_dword v33, v[16:17], off
	v_lshl_add_u64 v[16:17], v[138:139], 0, s[22:23]
	s_waitcnt vmcnt(4)
	v_ashrrev_i32_e32 v31, v234, v34
	global_load_dwordx2 v[16:17], v[16:17], off offset:-4
	v_and_b32_e32 v31, 0xf0f0f0f, v31
	v_mul_u32_u24_sdwa v25, v25, s21 dst_sel:DWORD dst_unused:UNUSED_PAD src0_sel:WORD_1 src1_sel:DWORD
	v_lshl_add_u64 v[88:89], v[88:89], 0, s[52:53]
	v_lshl_add_u64 v[90:91], v[90:91], 0, s[52:53]
	s_waitcnt vmcnt(4)
	v_lshrrev_b32_e32 v34, v233, v21
	v_lshlrev_b32_e32 v34, 4, v34
	v_and_or_b32 v31, v34, 16, v31
	v_lshrrev_b32_e32 v34, v235, v21
	v_lshrrev_b32_e32 v35, v236, v21
	;; [unrolled: 1-line block ×3, first 2 shown]
	v_lshlrev_b32_e32 v34, 12, v34
	v_lshlrev_b32_e32 v35, 20, v35
	;; [unrolled: 1-line block ×3, first 2 shown]
	v_and_or_b32 v34, v34, s4, v31
	v_and_b32_e32 v35, 0x100000, v35
	v_and_b32_e32 v21, 0x10000000, v21
	v_or3_b32 v21, v35, v21, v34
	v_lshrrev_b32_e32 v34, 8, v34
	v_and_b32_e32 v31, 31, v31
	v_and_b32_e32 v34, 31, v34
	v_cvt_f16_u16_e32 v31, v31
	v_cvt_f16_u16_e32 v34, v34
	v_pack_b32_f16 v31, v31, v34
	v_and_b32_sdwa v34, v21, v239 dst_sel:DWORD dst_unused:UNUSED_PAD src0_sel:WORD_1 src1_sel:DWORD
	v_cvt_f16_u16_sdwa v21, v21 dst_sel:DWORD dst_unused:UNUSED_PAD src0_sel:BYTE_3
	v_cvt_f16_u16_e32 v34, v34
	v_mul_u32_u24_sdwa v35, v20, s21 dst_sel:DWORD dst_unused:UNUSED_PAD src0_sel:WORD_0 src1_sel:DWORD
	v_mul_u32_u24_sdwa v20, v20, s21 dst_sel:DWORD dst_unused:UNUSED_PAD src0_sel:WORD_1 src1_sel:DWORD
	v_pack_b32_f16 v21, v34, v21
	v_pk_fma_f16 v31, v31, v35, v20
	v_pk_fma_f16 v34, v21, v35, v20
	v_lshl_add_u64 v[20:21], v[128:129], 0, s[22:23]
	v_pk_fma_f16 v29, v31, v28, v29
	v_pk_fma_f16 v28, v34, v28, v30
	global_load_dword v30, v[20:21], off
	v_lshl_add_u64 v[20:21], v[132:133], 0, s[22:23]
	v_pk_fma_f16 v24, v34, v25, v24
	s_waitcnt vmcnt(4)
	v_ashrrev_i32_e32 v34, v234, v36
	s_waitcnt vmcnt(3)
	v_lshrrev_b32_e32 v35, v233, v23
	global_load_dwordx2 v[20:21], v[20:21], off offset:-4
	v_and_b32_e32 v34, 0xf0f0f0f, v34
	v_lshlrev_b32_e32 v35, 4, v35
	v_and_or_b32 v34, v35, 16, v34
	v_lshrrev_b32_e32 v35, v235, v23
	v_lshrrev_b32_e32 v36, v236, v23
	;; [unrolled: 1-line block ×3, first 2 shown]
	v_lshlrev_b32_e32 v35, 12, v35
	v_lshlrev_b32_e32 v36, 20, v36
	;; [unrolled: 1-line block ×3, first 2 shown]
	v_and_or_b32 v35, v35, s4, v34
	v_and_b32_e32 v36, 0x100000, v36
	v_and_b32_e32 v23, 0x10000000, v23
	v_or3_b32 v23, v36, v23, v35
	v_lshrrev_b32_e32 v35, 8, v35
	v_and_b32_e32 v34, 31, v34
	v_and_b32_e32 v35, 31, v35
	v_mul_u32_u24_sdwa v36, v22, s21 dst_sel:DWORD dst_unused:UNUSED_PAD src0_sel:WORD_0 src1_sel:DWORD
	v_mul_u32_u24_sdwa v37, v22, s21 dst_sel:DWORD dst_unused:UNUSED_PAD src0_sel:WORD_1 src1_sel:DWORD
	v_cvt_f16_u16_e32 v22, v34
	v_cvt_f16_u16_e32 v34, v35
	v_pack_b32_f16 v22, v22, v34
	v_pk_fma_f16 v34, v22, v36, v37
	v_and_b32_sdwa v22, v23, v239 dst_sel:DWORD dst_unused:UNUSED_PAD src0_sel:WORD_1 src1_sel:DWORD
	v_cvt_f16_u16_sdwa v23, v23 dst_sel:DWORD dst_unused:UNUSED_PAD src0_sel:BYTE_3
	v_cvt_f16_u16_e32 v22, v22
	v_pack_b32_f16 v35, v22, v23
	v_lshl_add_u64 v[22:23], v[122:123], 0, s[22:23]
	global_load_dword v38, v[22:23], off
	v_lshl_add_u64 v[22:23], v[126:127], 0, s[22:23]
	global_load_dwordx2 v[22:23], v[22:23], off
	v_pk_fma_f16 v31, v31, v25, v32
	v_mul_u32_u24_sdwa v25, v18, s21 dst_sel:DWORD dst_unused:UNUSED_PAD src0_sel:WORD_0 src1_sel:DWORD
	v_mul_u32_u24_sdwa v32, v26, s21 dst_sel:DWORD dst_unused:UNUSED_PAD src0_sel:WORD_0 src1_sel:DWORD
	v_pk_fma_f16 v35, v35, v36, v37
	v_pk_fma_f16 v29, v34, v25, v29
	;; [unrolled: 1-line block ×5, first 2 shown]
	s_waitcnt vmcnt(5)
	v_ashrrev_i32_e32 v28, v234, v33
	s_waitcnt vmcnt(4)
	v_lshrrev_b32_e32 v32, v233, v17
	v_and_b32_e32 v28, 0xf0f0f0f, v28
	v_lshlrev_b32_e32 v32, 4, v32
	v_and_or_b32 v28, v32, 16, v28
	v_lshrrev_b32_e32 v32, v235, v17
	v_lshrrev_b32_e32 v33, v236, v17
	;; [unrolled: 1-line block ×3, first 2 shown]
	v_lshlrev_b32_e32 v32, 12, v32
	v_lshlrev_b32_e32 v33, 20, v33
	;; [unrolled: 1-line block ×3, first 2 shown]
	v_and_or_b32 v32, v32, s4, v28
	v_and_b32_e32 v33, 0x100000, v33
	v_and_b32_e32 v17, 0x10000000, v17
	v_or3_b32 v17, v33, v17, v32
	v_lshrrev_b32_e32 v32, 8, v32
	v_and_b32_e32 v28, 31, v28
	v_and_b32_e32 v32, 31, v32
	v_cvt_f16_u16_e32 v28, v28
	v_cvt_f16_u16_e32 v32, v32
	v_pack_b32_f16 v28, v28, v32
	v_and_b32_sdwa v32, v17, v239 dst_sel:DWORD dst_unused:UNUSED_PAD src0_sel:WORD_1 src1_sel:DWORD
	v_cvt_f16_u16_sdwa v17, v17 dst_sel:DWORD dst_unused:UNUSED_PAD src0_sel:BYTE_3
	v_cvt_f16_u16_e32 v32, v32
	v_mul_u32_u24_sdwa v33, v16, s21 dst_sel:DWORD dst_unused:UNUSED_PAD src0_sel:WORD_0 src1_sel:DWORD
	v_mul_u32_u24_sdwa v16, v16, s21 dst_sel:DWORD dst_unused:UNUSED_PAD src0_sel:WORD_1 src1_sel:DWORD
	v_pack_b32_f16 v17, v32, v17
	v_mul_u32_u24_sdwa v18, v18, s21 dst_sel:DWORD dst_unused:UNUSED_PAD src0_sel:WORD_1 src1_sel:DWORD
	v_mul_u32_u24_sdwa v26, v26, s21 dst_sel:DWORD dst_unused:UNUSED_PAD src0_sel:WORD_1 src1_sel:DWORD
	v_pk_fma_f16 v28, v28, v33, v16
	v_pk_fma_f16 v16, v17, v33, v16
	;; [unrolled: 1-line block ×6, first 2 shown]
	v_mul_u32_u24_sdwa v24, v19, s21 dst_sel:DWORD dst_unused:UNUSED_PAD src0_sel:WORD_0 src1_sel:DWORD
	s_waitcnt vmcnt(3)
	v_ashrrev_i32_e32 v26, v234, v30
	v_and_b32_e32 v26, 0xf0f0f0f, v26
	v_mul_u32_u24_sdwa v25, v27, s21 dst_sel:DWORD dst_unused:UNUSED_PAD src0_sel:WORD_0 src1_sel:DWORD
	v_mul_u32_u24_sdwa v19, v19, s21 dst_sel:DWORD dst_unused:UNUSED_PAD src0_sel:WORD_1 src1_sel:DWORD
	v_lshl_add_u64 v[92:93], v[92:93], 0, s[52:53]
	s_waitcnt vmcnt(2)
	v_lshrrev_b32_e32 v29, v233, v21
	v_lshlrev_b32_e32 v29, 4, v29
	v_and_or_b32 v26, v29, 16, v26
	v_lshrrev_b32_e32 v29, v235, v21
	v_lshrrev_b32_e32 v30, v236, v21
	;; [unrolled: 1-line block ×3, first 2 shown]
	v_lshlrev_b32_e32 v29, 12, v29
	v_lshlrev_b32_e32 v30, 20, v30
	;; [unrolled: 1-line block ×3, first 2 shown]
	v_and_or_b32 v29, v29, s4, v26
	v_and_b32_e32 v30, 0x100000, v30
	v_and_b32_e32 v21, 0x10000000, v21
	v_or3_b32 v21, v30, v21, v29
	v_lshrrev_b32_e32 v29, 8, v29
	v_and_b32_e32 v26, 31, v26
	v_and_b32_e32 v29, 31, v29
	v_cvt_f16_u16_e32 v26, v26
	v_cvt_f16_u16_e32 v29, v29
	v_pack_b32_f16 v26, v26, v29
	v_and_b32_sdwa v29, v21, v239 dst_sel:DWORD dst_unused:UNUSED_PAD src0_sel:WORD_1 src1_sel:DWORD
	v_cvt_f16_u16_sdwa v21, v21 dst_sel:DWORD dst_unused:UNUSED_PAD src0_sel:BYTE_3
	v_cvt_f16_u16_e32 v29, v29
	v_mul_u32_u24_sdwa v30, v20, s21 dst_sel:DWORD dst_unused:UNUSED_PAD src0_sel:WORD_0 src1_sel:DWORD
	v_mul_u32_u24_sdwa v20, v20, s21 dst_sel:DWORD dst_unused:UNUSED_PAD src0_sel:WORD_1 src1_sel:DWORD
	v_pack_b32_f16 v21, v29, v21
	v_pk_fma_f16 v26, v26, v30, v20
	v_pk_fma_f16 v20, v21, v30, v20
	;; [unrolled: 1-line block ×5, first 2 shown]
	s_waitcnt vmcnt(1)
	v_ashrrev_i32_e32 v16, v234, v38
	s_waitcnt vmcnt(0)
	v_lshrrev_b32_e32 v18, v233, v23
	v_and_b32_e32 v16, 0xf0f0f0f, v16
	v_lshlrev_b32_e32 v18, 4, v18
	v_pk_fma_f16 v21, v26, v25, v28
	v_and_or_b32 v16, v18, 16, v16
	v_lshrrev_b32_e32 v18, v235, v23
	v_lshrrev_b32_e32 v26, v236, v23
	;; [unrolled: 1-line block ×3, first 2 shown]
	v_lshlrev_b32_e32 v18, 12, v18
	v_lshlrev_b32_e32 v26, 20, v26
	v_lshlrev_b32_e32 v23, 28, v23
	v_and_or_b32 v18, v18, s4, v16
	v_and_b32_e32 v26, 0x100000, v26
	v_and_b32_e32 v23, 0x10000000, v23
	v_or3_b32 v23, v26, v23, v18
	v_lshrrev_b32_e32 v18, 8, v18
	v_and_b32_e32 v16, 31, v16
	v_and_b32_e32 v18, 31, v18
	v_cvt_f16_u16_e32 v16, v16
	v_cvt_f16_u16_e32 v18, v18
	v_mul_u32_u24_sdwa v26, v22, s21 dst_sel:DWORD dst_unused:UNUSED_PAD src0_sel:WORD_0 src1_sel:DWORD
	v_mul_u32_u24_sdwa v22, v22, s21 dst_sel:DWORD dst_unused:UNUSED_PAD src0_sel:WORD_1 src1_sel:DWORD
	v_pack_b32_f16 v16, v16, v18
	v_pk_fma_f16 v18, v16, v26, v22
	v_and_b32_sdwa v16, v23, v239 dst_sel:DWORD dst_unused:UNUSED_PAD src0_sel:WORD_1 src1_sel:DWORD
	v_cvt_f16_u16_sdwa v23, v23 dst_sel:DWORD dst_unused:UNUSED_PAD src0_sel:BYTE_3
	v_cvt_f16_u16_e32 v16, v16
	v_pack_b32_f16 v16, v16, v23
	v_mul_u32_u24_sdwa v25, v27, s21 dst_sel:DWORD dst_unused:UNUSED_PAD src0_sel:WORD_1 src1_sel:DWORD
	v_pk_fma_f16 v22, v16, v26, v22
	v_pk_fma_f16 v16, v18, v19, v17
	;; [unrolled: 1-line block ×5, first 2 shown]
	v_lshl_add_u64 v[94:95], v[94:95], 0, s[52:53]
	v_lshl_add_u64 v[96:97], v[96:97], 0, s[52:53]
	;; [unrolled: 1-line block ×57, first 2 shown]
	s_cmp_ge_i32 s26, s37
	v_lshl_add_u64 v[208:209], v[208:209], 0, s[52:53]
	s_cbranch_scc1 .LBB19_36
; %bb.34:                               ;   in Loop: Header=BB19_17 Depth=1
	v_mov_b32_e32 v29, v212
	v_mov_b32_e32 v28, v213
	s_branch .LBB19_17
.LBB19_35:
	v_mov_b32_e32 v212, 0xfeffffff
	v_mov_b32_e32 v213, v212
	;; [unrolled: 1-line block ×3, first 2 shown]
	s_branch .LBB19_37
.LBB19_36:
	ds_write_b128 v223, v[16:19]
.LBB19_37:
	s_cmp_eq_u64 s[24:25], 0
	s_cselect_b64 s[6:7], -1, 0
	s_cmp_lg_u32 s5, 0
	s_cselect_b64 s[8:9], -1, 0
	s_or_b64 s[6:7], s[8:9], s[6:7]
	s_nor_b64 s[0:1], s[6:7], s[0:1]
	s_and_saveexec_b64 s[8:9], s[0:1]
	s_cbranch_execz .LBB19_39
; %bb.38:
	s_ashr_i32 s37, s36, 31
	s_lshl_b64 s[0:1], s[36:37], 2
	s_add_u32 s0, s24, s0
	s_addc_u32 s1, s25, s1
	s_load_dword s4, s[0:1], 0x0
	v_cmp_eq_u32_e32 vcc, 1, v219
	s_mov_b32 s10, 0x3fb8aa3b
	v_cmp_eq_u32_e64 s[0:1], 0, v219
	v_cndmask_b32_e32 v0, v212, v213, vcc
	v_max_f32_e32 v1, v0, v0
	s_waitcnt lgkmcnt(0)
	v_max_f32_e64 v3, s4, s4
	v_max_f32_e32 v1, v3, v1
	v_sub_f32_e32 v0, v0, v1
	v_mul_f32_e32 v3, 0x3fb8aa3b, v0
	v_fma_f32 v4, v0, s10, -v3
	v_rndne_f32_e32 v5, v3
	v_fmac_f32_e32 v4, 0x32a5705f, v0
	v_sub_f32_e32 v3, v3, v5
	v_add_f32_e32 v3, v3, v4
	v_exp_f32_e32 v3, v3
	v_cvt_i32_f32_e32 v4, v5
	v_cndmask_b32_e32 v213, v213, v1, vcc
	v_cndmask_b32_e64 v212, v212, v1, s[0:1]
	v_sub_f32_e32 v1, s4, v1
	v_ldexp_f32 v3, v3, v4
	v_mul_f32_e32 v4, 0x3fb8aa3b, v1
	v_fma_f32 v6, v1, s10, -v4
	v_rndne_f32_e32 v7, v4
	v_fmac_f32_e32 v6, 0x32a5705f, v1
	v_sub_f32_e32 v4, v4, v7
	v_add_f32_e32 v4, v4, v6
	v_exp_f32_e32 v4, v4
	v_cvt_i32_f32_e32 v6, v7
	s_mov_b32 s11, 0xc2ce8ed0
	v_cmp_ngt_f32_e64 s[6:7], s11, v0
	s_mov_b32 s12, 0x42b17218
	v_mov_b32_e32 v7, 0x7f800000
	v_cndmask_b32_e64 v3, 0, v3, s[6:7]
	v_cmp_nlt_f32_e64 s[6:7], s12, v0
	v_ldexp_f32 v0, v4, v6
	v_lshl_add_u32 v2, v219, 3, v223
	v_cndmask_b32_e64 v3, v7, v3, s[6:7]
	v_cmp_ngt_f32_e64 s[6:7], s11, v1
	v_cvt_f16_f32_e32 v6, v3
	v_cndmask_b32_e32 v5, v58, v59, vcc
	v_cndmask_b32_e64 v0, 0, v0, s[6:7]
	v_cmp_nlt_f32_e64 s[6:7], s12, v1
	s_nop 1
	v_cndmask_b32_e64 v0, v7, v0, s[6:7]
	v_cmp_eq_u32_e64 s[6:7], 0, v218
	s_nop 1
	v_cndmask_b32_e64 v4, 0, v0, s[6:7]
	ds_read_b64 v[0:1], v2
	v_fmac_f32_e32 v4, v5, v3
	v_mul_u32_u24_e32 v3, 0x10001, v6
	v_cndmask_b32_e32 v59, v59, v4, vcc
	v_cndmask_b32_e64 v58, v58, v4, s[0:1]
	s_waitcnt lgkmcnt(0)
	v_pk_mul_f16 v0, v0, v3
	v_pk_mul_f16 v1, v1, v3
	ds_write_b64 v2, v[0:1]
.LBB19_39:
	s_or_b64 exec, exec, s[8:9]
	v_cmp_eq_u32_e32 vcc, 0, v219
	v_add_u32_e32 v4, 0x500, v224
	v_add_u32_e32 v10, 0x400, v224
	s_and_saveexec_b64 s[0:1], vcc
	s_cbranch_execz .LBB19_41
; %bb.40:
	v_mov_b32_e32 v0, 0xfeffffff
	v_mov_b32_e32 v1, 0
	ds_write2_b32 v10, v0, v0 offset1:32
	ds_write2_b32 v4, v1, v1 offset1:32
.LBB19_41:
	s_or_b64 exec, exec, s[0:1]
	v_cmp_eq_u32_e64 s[0:1], 0, v218
	s_waitcnt lgkmcnt(0)
	s_barrier
	s_and_saveexec_b64 s[6:7], s[0:1]
; %bb.42:
	v_lshlrev_b32_e32 v0, 2, v219
	v_add_u32_e32 v0, 0x400, v0
	ds_write2_b32 v0, v212, v213 offset1:32
; %bb.43:
	s_or_b64 exec, exec, s[6:7]
	s_cmp_lt_i32 s33, s34
	s_waitcnt lgkmcnt(0)
	s_barrier
	s_cbranch_scc1 .LBB19_45
; %bb.44:
	s_load_dword s4, s[2:3], 0xd4
	s_mul_i32 s70, s70, s34
	s_cbranch_execz .LBB19_46
	s_branch .LBB19_54
.LBB19_45:
                                        ; implicit-def: $sgpr4
	s_mul_i32 s70, s70, s34
.LBB19_46:
	v_mbcnt_hi_u32_b32 v0, -1, v226
	v_and_b32_e32 v1, 0x60, v0
	ds_read_b32 v2, v10
	v_add_u32_e32 v1, 32, v1
	v_xor_b32_e32 v3, 16, v0
	v_cmp_lt_i32_e32 vcc, v3, v1
	v_xor_b32_e32 v6, 8, v0
	v_xor_b32_e32 v8, 2, v0
	v_cndmask_b32_e32 v3, v0, v3, vcc
	v_lshlrev_b32_e32 v5, 2, v3
	s_waitcnt lgkmcnt(0)
	ds_bpermute_b32 v3, v5, v2
	v_cmp_lt_i32_e32 vcc, v6, v1
	v_max_f32_e32 v2, v2, v2
	v_xor_b32_e32 v9, 1, v0
	v_cndmask_b32_e32 v6, v0, v6, vcc
	s_waitcnt lgkmcnt(0)
	v_max_f32_e32 v3, v3, v3
	v_lshlrev_b32_e32 v7, 2, v6
	v_max_f32_e32 v2, v2, v3
	ds_bpermute_b32 v3, v7, v2
	v_xor_b32_e32 v6, 4, v0
	v_cmp_lt_i32_e32 vcc, v6, v1
	s_mov_b32 s4, 0x3fb8aa3b
	ds_read_b64 v[14:15], v223
	v_cndmask_b32_e32 v6, v0, v6, vcc
	s_waitcnt lgkmcnt(1)
	v_max_f32_e32 v3, v3, v3
	v_lshlrev_b32_e32 v6, 2, v6
	v_max_f32_e32 v2, v2, v3
	ds_bpermute_b32 v3, v6, v2
	v_cmp_lt_i32_e32 vcc, v8, v1
	v_lshlrev_b32_e32 v12, 3, v218
	v_add_u32_e32 v12, v220, v12
	v_cndmask_b32_e32 v8, v0, v8, vcc
	s_waitcnt lgkmcnt(0)
	v_max_f32_e32 v3, v3, v3
	v_lshlrev_b32_e32 v8, 2, v8
	v_max_f32_e32 v2, v2, v3
	ds_bpermute_b32 v3, v8, v2
	v_cmp_lt_i32_e32 vcc, v9, v1
	s_nop 1
	v_cndmask_b32_e32 v0, v0, v9, vcc
	v_lshlrev_b32_e32 v9, 2, v0
	s_waitcnt lgkmcnt(0)
	v_max_f32_e32 v0, v3, v3
	v_max_f32_e32 v0, v2, v0
	ds_bpermute_b32 v1, v9, v0
	s_waitcnt lgkmcnt(0)
	v_max_f32_e32 v1, v1, v1
	v_max_f32_e32 v0, v0, v1
	v_sub_f32_e32 v1, v212, v0
	v_mul_f32_e32 v2, 0x3fb8aa3b, v1
	v_fma_f32 v3, v1, s4, -v2
	v_rndne_f32_e32 v11, v2
	v_fmamk_f32 v3, v1, 0x32a5705f, v3
	v_sub_f32_e32 v2, v2, v11
	v_add_f32_e32 v2, v2, v3
	v_exp_f32_e32 v2, v2
	v_cvt_i32_f32_e32 v3, v11
	s_mov_b32 s4, 0xc2ce8ed0
	v_cmp_ngt_f32_e32 vcc, s4, v1
	s_mov_b32 s4, 0x42b17218
	v_ldexp_f32 v2, v2, v3
	v_cndmask_b32_e32 v2, 0, v2, vcc
	v_mov_b32_e32 v3, 0x7f800000
	v_cmp_nlt_f32_e32 vcc, s4, v1
	s_load_dword s4, s[2:3], 0xd4
	v_mov_b32_e32 v11, 0x500
	v_cndmask_b32_e32 v1, v3, v2, vcc
	v_mul_f32_e32 v2, v58, v1
	ds_bpermute_b32 v2, v5, v2
	v_lshl_add_u32 v11, v219, 2, v11
	s_waitcnt lgkmcnt(0)
	v_fmac_f32_e32 v2, v58, v1
	ds_bpermute_b32 v3, v7, v2
	v_cvt_f16_f32_e32 v1, v1
	s_waitcnt lgkmcnt(0)
	v_add_f32_e32 v2, v2, v3
	ds_bpermute_b32 v3, v6, v2
	v_mul_u32_u24_e32 v13, 0x10001, v1
	v_pk_mul_f16 v14, v14, v13
	v_pk_mul_f16 v15, v15, v13
	ds_write_b64 v223, v[14:15]
	ds_write_b64 v12, v[14:15]
	s_waitcnt lgkmcnt(2)
	v_add_f32_e32 v2, v2, v3
	ds_bpermute_b32 v3, v8, v2
	s_waitcnt lgkmcnt(0)
	v_add_f32_e32 v1, v2, v3
	ds_bpermute_b32 v2, v9, v1
	s_and_saveexec_b64 s[2:3], s[0:1]
	s_cbranch_execz .LBB19_48
; %bb.47:
	s_waitcnt lgkmcnt(0)
	v_add_f32_e32 v1, v1, v2
	ds_write_b32 v11, v1
.LBB19_48:
	s_or_b64 exec, exec, s[2:3]
	s_waitcnt lgkmcnt(0)
	s_barrier
	ds_read_b32 v1, v4
	ds_read_u16 v2, v222
	ds_read_u16 v13, v222 offset:256
	ds_read_u16 v16, v222 offset:512
	;; [unrolled: 1-line block ×3, first 2 shown]
	s_waitcnt lgkmcnt(4)
	ds_bpermute_b32 v3, v5, v1
	s_waitcnt lgkmcnt(4)
	v_cvt_f32_f16_e32 v2, v2
	v_mov_b32_e32 v17, 0
	v_mov_b32_e32 v14, v17
	s_cmp_eq_u32 s4, 1
	s_waitcnt lgkmcnt(0)
	v_add_f32_e32 v3, v1, v3
	ds_bpermute_b32 v15, v7, v3
	s_waitcnt lgkmcnt(0)
	v_pk_add_f32 v[2:3], v[2:3], v[14:15]
	ds_bpermute_b32 v15, v6, v3
	v_cvt_f32_f16_e32 v14, v13
	s_waitcnt lgkmcnt(0)
	v_pk_add_f32 v[2:3], v[2:3], v[14:15]
	ds_bpermute_b32 v15, v8, v3
	v_cvt_f32_f16_e32 v14, v16
	;; [unrolled: 4-line block ×3, first 2 shown]
	s_waitcnt lgkmcnt(0)
	v_pk_add_f32 v[2:3], v[2:3], v[14:15]
	s_nop 0
	v_div_scale_f32 v13, s[2:3], v3, v3, v2
	v_rcp_f32_e32 v14, v13
	v_div_scale_f32 v15, vcc, v2, v3, v2
	s_cselect_b64 s[2:3], -1, 0
	v_fma_f32 v16, -v13, v14, 1.0
	v_fmac_f32_e32 v14, v16, v14
	v_mul_f32_e32 v16, v15, v14
	s_add_i32 s6, s33, s70
	v_fma_f32 v18, -v13, v16, v15
	s_mul_i32 s8, s6, s35
	v_fmac_f32_e32 v16, v18, v14
	s_add_i32 s8, s8, s36
	v_fma_f32 v13, -v13, v16, v15
	s_mul_i32 s6, s4, s8
	v_div_fmas_f32 v13, v13, v14, v16
	s_add_i32 s6, s6, s5
	v_div_fixup_f32 v13, v13, v3, v2
	s_or_b32 s7, s33, 1
	v_lshl_or_b32 v16, s6, 7, v221
	v_cndmask_b32_e64 v2, v2, v13, s[2:3]
	s_cmp_ge_i32 s7, s34
	v_lshl_add_u64 v[14:15], v[16:17], 2, s[28:29]
	global_store_dword v[14:15], v2, off
	s_barrier
	s_cbranch_scc1 .LBB19_52
; %bb.49:
	ds_read_b32 v1, v10 offset:128
	s_mov_b32 s6, 0x3fb8aa3b
	s_mov_b32 s7, 0x42b17218
	s_waitcnt lgkmcnt(0)
	ds_bpermute_b32 v2, v5, v1
	v_max_f32_e32 v1, v1, v1
	s_waitcnt lgkmcnt(0)
	v_max_f32_e32 v2, v2, v2
	v_max_f32_e32 v1, v1, v2
	ds_bpermute_b32 v2, v7, v1
	s_waitcnt lgkmcnt(0)
	v_max_f32_e32 v2, v2, v2
	v_max_f32_e32 v1, v1, v2
	ds_bpermute_b32 v2, v6, v1
	;; [unrolled: 4-line block ×4, first 2 shown]
	s_waitcnt lgkmcnt(0)
	v_max_f32_e32 v2, v2, v2
	v_max_f32_e32 v1, v1, v2
	v_sub_f32_e32 v2, v213, v1
	v_mul_f32_e32 v10, 0x3fb8aa3b, v2
	v_fma_f32 v13, v2, s6, -v10
	v_rndne_f32_e32 v14, v10
	v_fmamk_f32 v13, v2, 0x32a5705f, v13
	v_sub_f32_e32 v10, v10, v14
	v_add_f32_e32 v10, v10, v13
	v_cvt_i32_f32_e32 v14, v14
	v_exp_f32_e32 v10, v10
	s_mov_b32 s6, 0xc2ce8ed0
	v_cmp_ngt_f32_e32 vcc, s6, v2
	v_mov_b32_e32 v13, 0x7f800000
	v_ldexp_f32 v10, v10, v14
	v_cndmask_b32_e32 v10, 0, v10, vcc
	v_cmp_nlt_f32_e32 vcc, s7, v2
	ds_read_b64 v[14:15], v223 offset:8
	s_nop 0
	v_cndmask_b32_e32 v2, v13, v10, vcc
	v_mul_f32_e32 v10, v59, v2
	ds_bpermute_b32 v10, v5, v10
	s_waitcnt lgkmcnt(0)
	v_fmac_f32_e32 v10, v59, v2
	ds_bpermute_b32 v13, v7, v10
	v_cvt_f16_f32_e32 v2, v2
	s_waitcnt lgkmcnt(0)
	v_add_f32_e32 v10, v10, v13
	ds_bpermute_b32 v13, v6, v10
	v_mul_u32_u24_e32 v16, 0x10001, v2
	v_pk_mul_f16 v14, v14, v16
	v_pk_mul_f16 v15, v15, v16
	ds_write_b64 v223, v[14:15] offset:8
	ds_write_b64 v12, v[14:15]
	s_waitcnt lgkmcnt(2)
	v_add_f32_e32 v10, v10, v13
	ds_bpermute_b32 v13, v8, v10
	s_waitcnt lgkmcnt(0)
	v_add_f32_e32 v2, v10, v13
	ds_bpermute_b32 v10, v9, v2
	s_and_saveexec_b64 s[6:7], s[0:1]
	s_cbranch_execz .LBB19_51
; %bb.50:
	s_waitcnt lgkmcnt(0)
	v_add_f32_e32 v2, v2, v10
	ds_write_b32 v11, v2 offset:128
.LBB19_51:
	s_or_b64 exec, exec, s[6:7]
	s_waitcnt lgkmcnt(0)
	s_barrier
	ds_read_b32 v2, v4 offset:128
	ds_read_u16 v4, v222
	ds_read_u16 v12, v222 offset:256
	ds_read_u16 v13, v222 offset:512
	;; [unrolled: 1-line block ×3, first 2 shown]
	s_waitcnt lgkmcnt(4)
	ds_bpermute_b32 v5, v5, v2
	s_waitcnt lgkmcnt(4)
	v_cvt_f32_f16_e32 v4, v4
	s_add_i32 s8, s8, s35
	s_mul_i32 s0, s4, s8
	s_add_i32 s0, s0, s5
	s_waitcnt lgkmcnt(0)
	v_add_f32_e32 v5, v2, v5
	ds_bpermute_b32 v11, v7, v5
	v_mov_b32_e32 v7, 0
	v_mov_b32_e32 v10, v7
	s_waitcnt lgkmcnt(0)
	v_pk_add_f32 v[4:5], v[4:5], v[10:11]
	ds_bpermute_b32 v11, v6, v5
	v_cvt_f32_f16_e32 v10, v12
	v_lshl_or_b32 v6, s0, 7, v221
	s_waitcnt lgkmcnt(0)
	v_pk_add_f32 v[4:5], v[4:5], v[10:11]
	ds_bpermute_b32 v11, v8, v5
	v_cvt_f32_f16_e32 v10, v13
	v_cvt_f32_f16_e32 v8, v14
	s_waitcnt lgkmcnt(0)
	v_pk_add_f32 v[4:5], v[4:5], v[10:11]
	ds_bpermute_b32 v9, v9, v5
	s_waitcnt lgkmcnt(0)
	v_pk_add_f32 v[58:59], v[4:5], v[8:9]
	s_nop 0
	v_div_scale_f32 v2, s[0:1], v59, v59, v58
	v_rcp_f32_e32 v8, v2
	v_lshl_add_u64 v[4:5], v[6:7], 2, s[28:29]
	v_div_scale_f32 v6, vcc, v58, v59, v58
	v_fma_f32 v7, -v2, v8, 1.0
	v_fmac_f32_e32 v8, v7, v8
	v_mul_f32_e32 v7, v6, v8
	v_fma_f32 v9, -v2, v7, v6
	v_fmac_f32_e32 v7, v9, v8
	v_fma_f32 v2, -v2, v7, v6
	v_div_fmas_f32 v2, v2, v8, v7
	v_div_fixup_f32 v2, v2, v59, v58
	v_cndmask_b32_e64 v2, v58, v2, s[2:3]
	global_store_dword v[4:5], v2, off
	s_branch .LBB19_53
.LBB19_52:
	v_mov_b32_e32 v1, v213
.LBB19_53:
	v_mov_b32_e32 v58, v3
	v_mov_b64_e32 v[212:213], v[0:1]
.LBB19_54:
	s_waitcnt lgkmcnt(0)
	s_cmp_lg_u32 s4, 1
	s_cselect_b64 s[0:1], -1, 0
	v_cmp_gt_u32_e32 vcc, 2, v221
	v_or_b32_e32 v0, s33, v218
	s_and_b64 s[0:1], s[0:1], vcc
	v_cmp_gt_i32_e32 vcc, s34, v0
	s_and_b64 s[0:1], s[0:1], vcc
	s_and_saveexec_b64 s[2:3], s[0:1]
	s_cbranch_execz .LBB19_56
; %bb.55:
	v_add_u32_e32 v0, s70, v0
	v_mul_lo_u32 v0, v0, s35
	v_add_u32_e32 v0, s36, v0
	v_mul_lo_u32 v0, s4, v0
	v_mov_b32_e32 v2, s30
	v_mov_b32_e32 v3, s31
	v_cmp_eq_u32_e32 vcc, 1, v221
	v_add_u32_e32 v0, s5, v0
	v_mov_b32_e32 v1, 0
	v_cndmask_b32_e32 v4, v212, v213, vcc
	v_cndmask_b32_e32 v5, v58, v59, vcc
	v_lshl_add_u64 v[0:1], v[0:1], 3, v[2:3]
	global_store_dwordx2 v[0:1], v[4:5], off
.LBB19_56:
	s_endpgm
	.section	.rodata,"a",@progbits
	.p2align	6, 0x0
	.amdhsa_kernel _ZL18flash_attn_ext_vecILi128ELi2EL9ggml_type7ELS0_7ELb0EEvPKcS2_S2_S2_S2_PKiPfP15HIP_vector_typeIfLj2EEffffjfiS6_IjLj3EEiiiiiiiiiiiliiliiiiil
		.amdhsa_group_segment_fixed_size 3584
		.amdhsa_private_segment_fixed_size 0
		.amdhsa_kernarg_size 464
		.amdhsa_user_sgpr_count 4
		.amdhsa_user_sgpr_dispatch_ptr 1
		.amdhsa_user_sgpr_queue_ptr 0
		.amdhsa_user_sgpr_kernarg_segment_ptr 1
		.amdhsa_user_sgpr_dispatch_id 0
		.amdhsa_user_sgpr_kernarg_preload_length 0
		.amdhsa_user_sgpr_kernarg_preload_offset 0
		.amdhsa_user_sgpr_private_segment_size 0
		.amdhsa_uses_dynamic_stack 0
		.amdhsa_enable_private_segment 0
		.amdhsa_system_sgpr_workgroup_id_x 1
		.amdhsa_system_sgpr_workgroup_id_y 1
		.amdhsa_system_sgpr_workgroup_id_z 1
		.amdhsa_system_sgpr_workgroup_info 0
		.amdhsa_system_vgpr_workitem_id 2
		.amdhsa_next_free_vgpr 255
		.amdhsa_next_free_sgpr 72
		.amdhsa_accum_offset 256
		.amdhsa_reserve_vcc 1
		.amdhsa_float_round_mode_32 0
		.amdhsa_float_round_mode_16_64 0
		.amdhsa_float_denorm_mode_32 3
		.amdhsa_float_denorm_mode_16_64 3
		.amdhsa_dx10_clamp 1
		.amdhsa_ieee_mode 1
		.amdhsa_fp16_overflow 0
		.amdhsa_tg_split 0
		.amdhsa_exception_fp_ieee_invalid_op 0
		.amdhsa_exception_fp_denorm_src 0
		.amdhsa_exception_fp_ieee_div_zero 0
		.amdhsa_exception_fp_ieee_overflow 0
		.amdhsa_exception_fp_ieee_underflow 0
		.amdhsa_exception_fp_ieee_inexact 0
		.amdhsa_exception_int_div_zero 0
	.end_amdhsa_kernel
	.section	.text._ZL18flash_attn_ext_vecILi128ELi2EL9ggml_type7ELS0_7ELb0EEvPKcS2_S2_S2_S2_PKiPfP15HIP_vector_typeIfLj2EEffffjfiS6_IjLj3EEiiiiiiiiiiiliiliiiiil,"axG",@progbits,_ZL18flash_attn_ext_vecILi128ELi2EL9ggml_type7ELS0_7ELb0EEvPKcS2_S2_S2_S2_PKiPfP15HIP_vector_typeIfLj2EEffffjfiS6_IjLj3EEiiiiiiiiiiiliiliiiiil,comdat
.Lfunc_end19:
	.size	_ZL18flash_attn_ext_vecILi128ELi2EL9ggml_type7ELS0_7ELb0EEvPKcS2_S2_S2_S2_PKiPfP15HIP_vector_typeIfLj2EEffffjfiS6_IjLj3EEiiiiiiiiiiiliiliiiiil, .Lfunc_end19-_ZL18flash_attn_ext_vecILi128ELi2EL9ggml_type7ELS0_7ELb0EEvPKcS2_S2_S2_S2_PKiPfP15HIP_vector_typeIfLj2EEffffjfiS6_IjLj3EEiiiiiiiiiiiliiliiiiil
                                        ; -- End function
	.set _ZL18flash_attn_ext_vecILi128ELi2EL9ggml_type7ELS0_7ELb0EEvPKcS2_S2_S2_S2_PKiPfP15HIP_vector_typeIfLj2EEffffjfiS6_IjLj3EEiiiiiiiiiiiliiliiiiil.num_vgpr, 255
	.set _ZL18flash_attn_ext_vecILi128ELi2EL9ggml_type7ELS0_7ELb0EEvPKcS2_S2_S2_S2_PKiPfP15HIP_vector_typeIfLj2EEffffjfiS6_IjLj3EEiiiiiiiiiiiliiliiiiil.num_agpr, 0
	.set _ZL18flash_attn_ext_vecILi128ELi2EL9ggml_type7ELS0_7ELb0EEvPKcS2_S2_S2_S2_PKiPfP15HIP_vector_typeIfLj2EEffffjfiS6_IjLj3EEiiiiiiiiiiiliiliiiiil.numbered_sgpr, 72
	.set _ZL18flash_attn_ext_vecILi128ELi2EL9ggml_type7ELS0_7ELb0EEvPKcS2_S2_S2_S2_PKiPfP15HIP_vector_typeIfLj2EEffffjfiS6_IjLj3EEiiiiiiiiiiiliiliiiiil.num_named_barrier, 0
	.set _ZL18flash_attn_ext_vecILi128ELi2EL9ggml_type7ELS0_7ELb0EEvPKcS2_S2_S2_S2_PKiPfP15HIP_vector_typeIfLj2EEffffjfiS6_IjLj3EEiiiiiiiiiiiliiliiiiil.private_seg_size, 0
	.set _ZL18flash_attn_ext_vecILi128ELi2EL9ggml_type7ELS0_7ELb0EEvPKcS2_S2_S2_S2_PKiPfP15HIP_vector_typeIfLj2EEffffjfiS6_IjLj3EEiiiiiiiiiiiliiliiiiil.uses_vcc, 1
	.set _ZL18flash_attn_ext_vecILi128ELi2EL9ggml_type7ELS0_7ELb0EEvPKcS2_S2_S2_S2_PKiPfP15HIP_vector_typeIfLj2EEffffjfiS6_IjLj3EEiiiiiiiiiiiliiliiiiil.uses_flat_scratch, 0
	.set _ZL18flash_attn_ext_vecILi128ELi2EL9ggml_type7ELS0_7ELb0EEvPKcS2_S2_S2_S2_PKiPfP15HIP_vector_typeIfLj2EEffffjfiS6_IjLj3EEiiiiiiiiiiiliiliiiiil.has_dyn_sized_stack, 0
	.set _ZL18flash_attn_ext_vecILi128ELi2EL9ggml_type7ELS0_7ELb0EEvPKcS2_S2_S2_S2_PKiPfP15HIP_vector_typeIfLj2EEffffjfiS6_IjLj3EEiiiiiiiiiiiliiliiiiil.has_recursion, 0
	.set _ZL18flash_attn_ext_vecILi128ELi2EL9ggml_type7ELS0_7ELb0EEvPKcS2_S2_S2_S2_PKiPfP15HIP_vector_typeIfLj2EEffffjfiS6_IjLj3EEiiiiiiiiiiiliiliiiiil.has_indirect_call, 0
	.section	.AMDGPU.csdata,"",@progbits
; Kernel info:
; codeLenInByte = 22780
; TotalNumSgprs: 78
; NumVgprs: 255
; NumAgprs: 0
; TotalNumVgprs: 255
; ScratchSize: 0
; MemoryBound: 0
; FloatMode: 240
; IeeeMode: 1
; LDSByteSize: 3584 bytes/workgroup (compile time only)
; SGPRBlocks: 9
; VGPRBlocks: 31
; NumSGPRsForWavesPerEU: 78
; NumVGPRsForWavesPerEU: 255
; AccumOffset: 256
; Occupancy: 2
; WaveLimiterHint : 0
; COMPUTE_PGM_RSRC2:SCRATCH_EN: 0
; COMPUTE_PGM_RSRC2:USER_SGPR: 4
; COMPUTE_PGM_RSRC2:TRAP_HANDLER: 0
; COMPUTE_PGM_RSRC2:TGID_X_EN: 1
; COMPUTE_PGM_RSRC2:TGID_Y_EN: 1
; COMPUTE_PGM_RSRC2:TGID_Z_EN: 1
; COMPUTE_PGM_RSRC2:TIDIG_COMP_CNT: 2
; COMPUTE_PGM_RSRC3_GFX90A:ACCUM_OFFSET: 63
; COMPUTE_PGM_RSRC3_GFX90A:TG_SPLIT: 0
	.section	.text._ZL33flash_attn_stream_k_fixup_uniformILi128ELi2ELi1EEvPfPK15HIP_vector_typeIfLj2EEiiiiiiS1_IjLj3EES5_S5_,"axG",@progbits,_ZL33flash_attn_stream_k_fixup_uniformILi128ELi2ELi1EEvPfPK15HIP_vector_typeIfLj2EEiiiiiiS1_IjLj3EES5_S5_,comdat
	.globl	_ZL33flash_attn_stream_k_fixup_uniformILi128ELi2ELi1EEvPfPK15HIP_vector_typeIfLj2EEiiiiiiS1_IjLj3EES5_S5_ ; -- Begin function _ZL33flash_attn_stream_k_fixup_uniformILi128ELi2ELi1EEvPfPK15HIP_vector_typeIfLj2EEiiiiiiS1_IjLj3EES5_S5_
	.p2align	8
	.type	_ZL33flash_attn_stream_k_fixup_uniformILi128ELi2ELi1EEvPfPK15HIP_vector_typeIfLj2EEiiiiiiS1_IjLj3EES5_S5_,@function
_ZL33flash_attn_stream_k_fixup_uniformILi128ELi2ELi1EEvPfPK15HIP_vector_typeIfLj2EEiiiiiiS1_IjLj3EES5_S5_: ; @_ZL33flash_attn_stream_k_fixup_uniformILi128ELi2ELi1EEvPfPK15HIP_vector_typeIfLj2EEiiiiiiS1_IjLj3EES5_S5_
; %bb.0:
	s_load_dwordx8 s[8:15], s[0:1], 0x1c
	s_load_dwordx2 s[6:7], s[0:1], 0x10
	s_load_dwordx4 s[20:23], s[0:1], 0x3c
	s_waitcnt lgkmcnt(0)
	s_mul_hi_u32 s5, s11, s2
	s_add_i32 s5, s2, s5
	s_lshr_b32 s5, s5, s12
	s_mul_i32 s11, s5, s13
	s_sub_i32 s11, s2, s11
	s_mul_hi_u32 s12, s11, s14
	s_add_i32 s12, s11, s12
	s_lshr_b32 s16, s12, s15
	s_mul_i32 s12, s16, s20
	s_sub_i32 s12, s11, s12
	;; [unrolled: 5-line block ×3, first 2 shown]
	s_lshl_b32 s12, s17, 1
	s_add_i32 s12, s12, s3
	s_cmp_lt_i32 s12, s6
	s_cselect_b64 s[12:13], -1, 0
	s_add_i32 s14, s11, s4
	s_cmp_lt_i32 s14, s9
	s_cselect_b64 s[14:15], -1, 0
	s_and_b64 s[12:13], s[12:13], s[14:15]
	s_andn2_b64 vcc, exec, s[12:13]
	s_cbranch_vccnz .LBB20_6
; %bb.1:
	s_load_dwordx4 s[12:15], s[0:1], 0x0
	s_mul_i32 s0, s5, s6
	s_add_i32 s0, s0, s3
	s_mul_i32 s0, s0, s7
	s_mul_i32 s16, s16, s9
	s_add_i32 s0, s0, s4
	s_add_i32 s0, s0, s16
	s_mul_i32 s1, s7, s17
	s_add_i32 s0, s0, s11
	s_lshl_b32 s1, s1, 8
	s_lshl_b32 s0, s0, 7
	s_add_i32 s1, s1, s0
	v_or_b32_e32 v4, s1, v0
	s_waitcnt lgkmcnt(0)
	v_mov_b32_e32 v2, s12
	v_mov_b32_e32 v3, s13
	v_ashrrev_i32_e32 v5, 31, v4
	v_lshl_add_u64 v[2:3], v[4:5], 2, v[2:3]
	global_load_dword v5, v[2:3], off
	s_mul_i32 s6, s10, s2
	s_add_i32 s7, s6, s10
	s_add_i32 s3, s3, s4
	s_lshl_b32 s0, s7, 1
	s_add_i32 s0, s3, s0
	s_add_i32 s0, s0, -2
	s_ashr_i32 s1, s0, 31
	s_lshl_b64 s[0:1], s[0:1], 3
	s_add_u32 s0, s14, s0
	s_addc_u32 s1, s15, s1
	s_load_dword s9, s[0:1], 0x4
	s_add_i32 s4, s7, -2
	s_cmp_lt_i32 s4, s6
	s_cbranch_scc1 .LBB20_4
; %bb.2:
	s_lshl_b32 s4, s8, 3
	s_ashr_i32 s5, s4, 31
	s_lshl_b64 s[4:5], s[4:5], 2
	s_add_u32 s4, s14, s4
	s_addc_u32 s5, s15, s5
	s_add_i32 s2, s2, 1
	s_mul_i32 s2, s10, s2
	s_load_dword s0, s[0:1], 0x0
	s_lshl_b32 s1, s3, 7
	s_lshl_b32 s10, s2, 8
	s_add_i32 s1, s1, s10
	v_or_b32_e32 v0, s1, v0
	s_lshl_b32 s1, s2, 1
	s_add_i32 s1, s3, s1
	s_lshl_b32 s2, s8, 1
	s_add_i32 s1, s1, s2
	s_add_i32 s7, s7, -1
	v_add_u32_e32 v0, 0xfffffe00, v0
	s_add_i32 s2, s1, -4
	s_waitcnt lgkmcnt(0)
	v_mov_b32_e32 v7, s0
	v_mov_b32_e32 v4, s9
	s_mov_b32 s8, 0x3fb8aa3b
	s_mov_b32 s9, 0xc2ce8ed0
	;; [unrolled: 1-line block ×3, first 2 shown]
	v_mov_b32_e32 v6, 0x7f800000
	s_mov_b32 s11, 0xc1a00000
.LBB20_3:                               ; =>This Inner Loop Header: Depth=1
	v_ashrrev_i32_e32 v1, 31, v0
	v_lshl_add_u64 v[8:9], v[0:1], 2, s[4:5]
	global_load_dword v9, v[8:9], off
	s_ashr_i32 s3, s2, 31
	s_lshl_b64 s[0:1], s[2:3], 3
	s_add_u32 s0, s14, s0
	s_addc_u32 s1, s15, s1
	s_load_dwordx2 s[0:1], s[0:1], 0x0
	v_max_f32_e32 v1, v7, v7
	s_add_i32 s7, s7, -1
	s_add_i32 s2, s2, -2
	v_add_u32_e32 v0, 0xffffff00, v0
	s_waitcnt lgkmcnt(0)
	v_max_f32_e64 v10, s0, s0
	v_max_f32_e32 v1, v1, v10
	v_sub_f32_e32 v11, s0, v1
	v_sub_f32_e32 v10, v7, v1
	v_mul_f32_e32 v12, 0x3fb8aa3b, v11
	v_mov_b32_e32 v7, v1
	v_mul_f32_e32 v1, 0x3fb8aa3b, v10
	v_fma_f32 v15, v11, s8, -v12
	v_rndne_f32_e32 v16, v12
	v_fma_f32 v13, v10, s8, -v1
	v_rndne_f32_e32 v14, v1
	v_fmac_f32_e32 v15, 0x32a5705f, v11
	v_sub_f32_e32 v12, v12, v16
	v_fmac_f32_e32 v13, 0x32a5705f, v10
	v_sub_f32_e32 v1, v1, v14
	v_add_f32_e32 v12, v12, v15
	v_cvt_i32_f32_e32 v16, v16
	v_add_f32_e32 v1, v1, v13
	v_exp_f32_e32 v12, v12
	v_cvt_i32_f32_e32 v14, v14
	v_exp_f32_e32 v1, v1
	v_cmp_ngt_f32_e32 vcc, s9, v11
	v_ldexp_f32 v12, v12, v16
	v_mov_b32_e32 v8, s1
	v_ldexp_f32 v1, v1, v14
	v_cmp_ngt_f32_e64 s[0:1], s9, v10
	v_cndmask_b32_e32 v12, 0, v12, vcc
	v_cmp_nlt_f32_e32 vcc, s10, v11
	v_cndmask_b32_e64 v1, 0, v1, s[0:1]
	v_cmp_nlt_f32_e64 s[0:1], s10, v10
	v_cndmask_b32_e32 v12, v6, v12, vcc
	v_cmp_le_f32_e32 vcc, s11, v11
	v_cndmask_b32_e64 v1, v6, v1, s[0:1]
	v_cmp_le_f32_e64 s[0:1], s11, v10
	v_cndmask_b32_e32 v12, 0, v12, vcc
	s_cmp_le_i32 s7, s6
	v_cndmask_b32_e64 v10, 0, v1, s[0:1]
	s_waitcnt vmcnt(0)
	v_pk_mul_f32 v[8:9], v[8:9], v[12:13] op_sel_hi:[1,0]
	s_nop 0
	v_pk_fma_f32 v[4:5], v[4:5], v[10:11], v[8:9] op_sel_hi:[1,0,1]
	s_cbranch_scc0 .LBB20_3
	s_branch .LBB20_5
.LBB20_4:
	s_waitcnt lgkmcnt(0)
	v_mov_b32_e32 v4, s9
.LBB20_5:
	s_waitcnt vmcnt(0)
	v_div_scale_f32 v0, s[0:1], v4, v4, v5
	v_rcp_f32_e32 v1, v0
	v_div_scale_f32 v6, vcc, v5, v4, v5
	v_fma_f32 v7, -v0, v1, 1.0
	v_fmac_f32_e32 v1, v7, v1
	v_mul_f32_e32 v7, v6, v1
	v_fma_f32 v8, -v0, v7, v6
	v_fmac_f32_e32 v7, v8, v1
	v_fma_f32 v0, -v0, v7, v6
	v_div_fmas_f32 v0, v0, v1, v7
	v_div_fixup_f32 v0, v0, v4, v5
	global_store_dword v[2:3], v0, off
.LBB20_6:
	s_endpgm
	.section	.rodata,"a",@progbits
	.p2align	6, 0x0
	.amdhsa_kernel _ZL33flash_attn_stream_k_fixup_uniformILi128ELi2ELi1EEvPfPK15HIP_vector_typeIfLj2EEiiiiiiS1_IjLj3EES5_S5_
		.amdhsa_group_segment_fixed_size 0
		.amdhsa_private_segment_fixed_size 0
		.amdhsa_kernarg_size 76
		.amdhsa_user_sgpr_count 2
		.amdhsa_user_sgpr_dispatch_ptr 0
		.amdhsa_user_sgpr_queue_ptr 0
		.amdhsa_user_sgpr_kernarg_segment_ptr 1
		.amdhsa_user_sgpr_dispatch_id 0
		.amdhsa_user_sgpr_kernarg_preload_length 0
		.amdhsa_user_sgpr_kernarg_preload_offset 0
		.amdhsa_user_sgpr_private_segment_size 0
		.amdhsa_uses_dynamic_stack 0
		.amdhsa_enable_private_segment 0
		.amdhsa_system_sgpr_workgroup_id_x 1
		.amdhsa_system_sgpr_workgroup_id_y 1
		.amdhsa_system_sgpr_workgroup_id_z 1
		.amdhsa_system_sgpr_workgroup_info 0
		.amdhsa_system_vgpr_workitem_id 0
		.amdhsa_next_free_vgpr 17
		.amdhsa_next_free_sgpr 24
		.amdhsa_accum_offset 20
		.amdhsa_reserve_vcc 1
		.amdhsa_float_round_mode_32 0
		.amdhsa_float_round_mode_16_64 0
		.amdhsa_float_denorm_mode_32 3
		.amdhsa_float_denorm_mode_16_64 3
		.amdhsa_dx10_clamp 1
		.amdhsa_ieee_mode 1
		.amdhsa_fp16_overflow 0
		.amdhsa_tg_split 0
		.amdhsa_exception_fp_ieee_invalid_op 0
		.amdhsa_exception_fp_denorm_src 0
		.amdhsa_exception_fp_ieee_div_zero 0
		.amdhsa_exception_fp_ieee_overflow 0
		.amdhsa_exception_fp_ieee_underflow 0
		.amdhsa_exception_fp_ieee_inexact 0
		.amdhsa_exception_int_div_zero 0
	.end_amdhsa_kernel
	.section	.text._ZL33flash_attn_stream_k_fixup_uniformILi128ELi2ELi1EEvPfPK15HIP_vector_typeIfLj2EEiiiiiiS1_IjLj3EES5_S5_,"axG",@progbits,_ZL33flash_attn_stream_k_fixup_uniformILi128ELi2ELi1EEvPfPK15HIP_vector_typeIfLj2EEiiiiiiS1_IjLj3EES5_S5_,comdat
.Lfunc_end20:
	.size	_ZL33flash_attn_stream_k_fixup_uniformILi128ELi2ELi1EEvPfPK15HIP_vector_typeIfLj2EEiiiiiiS1_IjLj3EES5_S5_, .Lfunc_end20-_ZL33flash_attn_stream_k_fixup_uniformILi128ELi2ELi1EEvPfPK15HIP_vector_typeIfLj2EEiiiiiiS1_IjLj3EES5_S5_
                                        ; -- End function
	.set _ZL33flash_attn_stream_k_fixup_uniformILi128ELi2ELi1EEvPfPK15HIP_vector_typeIfLj2EEiiiiiiS1_IjLj3EES5_S5_.num_vgpr, 17
	.set _ZL33flash_attn_stream_k_fixup_uniformILi128ELi2ELi1EEvPfPK15HIP_vector_typeIfLj2EEiiiiiiS1_IjLj3EES5_S5_.num_agpr, 0
	.set _ZL33flash_attn_stream_k_fixup_uniformILi128ELi2ELi1EEvPfPK15HIP_vector_typeIfLj2EEiiiiiiS1_IjLj3EES5_S5_.numbered_sgpr, 24
	.set _ZL33flash_attn_stream_k_fixup_uniformILi128ELi2ELi1EEvPfPK15HIP_vector_typeIfLj2EEiiiiiiS1_IjLj3EES5_S5_.num_named_barrier, 0
	.set _ZL33flash_attn_stream_k_fixup_uniformILi128ELi2ELi1EEvPfPK15HIP_vector_typeIfLj2EEiiiiiiS1_IjLj3EES5_S5_.private_seg_size, 0
	.set _ZL33flash_attn_stream_k_fixup_uniformILi128ELi2ELi1EEvPfPK15HIP_vector_typeIfLj2EEiiiiiiS1_IjLj3EES5_S5_.uses_vcc, 1
	.set _ZL33flash_attn_stream_k_fixup_uniformILi128ELi2ELi1EEvPfPK15HIP_vector_typeIfLj2EEiiiiiiS1_IjLj3EES5_S5_.uses_flat_scratch, 0
	.set _ZL33flash_attn_stream_k_fixup_uniformILi128ELi2ELi1EEvPfPK15HIP_vector_typeIfLj2EEiiiiiiS1_IjLj3EES5_S5_.has_dyn_sized_stack, 0
	.set _ZL33flash_attn_stream_k_fixup_uniformILi128ELi2ELi1EEvPfPK15HIP_vector_typeIfLj2EEiiiiiiS1_IjLj3EES5_S5_.has_recursion, 0
	.set _ZL33flash_attn_stream_k_fixup_uniformILi128ELi2ELi1EEvPfPK15HIP_vector_typeIfLj2EEiiiiiiS1_IjLj3EES5_S5_.has_indirect_call, 0
	.section	.AMDGPU.csdata,"",@progbits
; Kernel info:
; codeLenInByte = 816
; TotalNumSgprs: 30
; NumVgprs: 17
; NumAgprs: 0
; TotalNumVgprs: 17
; ScratchSize: 0
; MemoryBound: 0
; FloatMode: 240
; IeeeMode: 1
; LDSByteSize: 0 bytes/workgroup (compile time only)
; SGPRBlocks: 3
; VGPRBlocks: 2
; NumSGPRsForWavesPerEU: 30
; NumVGPRsForWavesPerEU: 17
; AccumOffset: 20
; Occupancy: 8
; WaveLimiterHint : 0
; COMPUTE_PGM_RSRC2:SCRATCH_EN: 0
; COMPUTE_PGM_RSRC2:USER_SGPR: 2
; COMPUTE_PGM_RSRC2:TRAP_HANDLER: 0
; COMPUTE_PGM_RSRC2:TGID_X_EN: 1
; COMPUTE_PGM_RSRC2:TGID_Y_EN: 1
; COMPUTE_PGM_RSRC2:TGID_Z_EN: 1
; COMPUTE_PGM_RSRC2:TIDIG_COMP_CNT: 0
; COMPUTE_PGM_RSRC3_GFX90A:ACCUM_OFFSET: 4
; COMPUTE_PGM_RSRC3_GFX90A:TG_SPLIT: 0
	.section	.text._ZL33flash_attn_stream_k_fixup_generalILi128ELi2ELi1EEvPfPK15HIP_vector_typeIfLj2EEiiiiS1_IjLj3EES5_S5_S5_,"axG",@progbits,_ZL33flash_attn_stream_k_fixup_generalILi128ELi2ELi1EEvPfPK15HIP_vector_typeIfLj2EEiiiiS1_IjLj3EES5_S5_S5_,comdat
	.globl	_ZL33flash_attn_stream_k_fixup_generalILi128ELi2ELi1EEvPfPK15HIP_vector_typeIfLj2EEiiiiS1_IjLj3EES5_S5_S5_ ; -- Begin function _ZL33flash_attn_stream_k_fixup_generalILi128ELi2ELi1EEvPfPK15HIP_vector_typeIfLj2EEiiiiS1_IjLj3EES5_S5_S5_
	.p2align	8
	.type	_ZL33flash_attn_stream_k_fixup_generalILi128ELi2ELi1EEvPfPK15HIP_vector_typeIfLj2EEiiiiS1_IjLj3EES5_S5_S5_,@function
_ZL33flash_attn_stream_k_fixup_generalILi128ELi2ELi1EEvPfPK15HIP_vector_typeIfLj2EEiiiiS1_IjLj3EES5_S5_S5_: ; @_ZL33flash_attn_stream_k_fixup_generalILi128ELi2ELi1EEvPfPK15HIP_vector_typeIfLj2EEiiiiS1_IjLj3EES5_S5_S5_
; %bb.0:
	s_load_dwordx4 s[8:11], s[0:1], 0x10
	s_load_dword s22, s[0:1], 0x50
	s_mov_b32 s12, 0
	s_waitcnt lgkmcnt(0)
	s_mul_hi_i32 s13, s11, s2
	s_cmp_lg_u64 s[12:13], 0
	s_mul_i32 s5, s11, s2
	s_cbranch_scc0 .LBB21_20
; %bb.1:
	s_add_u32 s6, s22, 0
	s_addc_u32 s7, 0, 0
	s_xor_b64 s[6:7], s[6:7], 0
	v_cvt_f32_u32_e32 v1, s6
	v_cvt_f32_u32_e32 v2, s7
	s_sub_u32 s12, 0, s6
	s_subb_u32 s18, 0, s7
	v_fmamk_f32 v1, v2, 0x4f800000, v1
	v_rcp_f32_e32 v1, v1
	s_nop 0
	v_mul_f32_e32 v1, 0x5f7ffffc, v1
	v_mul_f32_e32 v2, 0x2f800000, v1
	v_trunc_f32_e32 v2, v2
	v_fmamk_f32 v1, v2, 0xcf800000, v1
	v_cvt_u32_f32_e32 v2, v2
	v_cvt_u32_f32_e32 v1, v1
	v_readfirstlane_b32 s19, v2
	v_readfirstlane_b32 s14, v1
	s_mul_i32 s15, s12, s19
	s_mul_hi_u32 s21, s12, s14
	s_mul_i32 s20, s18, s14
	s_add_i32 s15, s21, s15
	s_add_i32 s15, s15, s20
	s_mul_i32 s23, s12, s14
	s_mul_i32 s21, s14, s15
	s_mul_hi_u32 s24, s14, s23
	s_mul_hi_u32 s20, s14, s15
	s_add_u32 s21, s24, s21
	s_addc_u32 s20, 0, s20
	s_mul_hi_u32 s25, s19, s23
	s_mul_i32 s23, s19, s23
	s_add_u32 s21, s21, s23
	s_mul_hi_u32 s24, s19, s15
	s_addc_u32 s20, s20, s25
	s_addc_u32 s21, s24, 0
	s_mul_i32 s15, s19, s15
	s_add_u32 s15, s20, s15
	s_addc_u32 s20, 0, s21
	s_add_u32 s21, s14, s15
	s_cselect_b64 s[14:15], -1, 0
	s_cmp_lg_u64 s[14:15], 0
	s_addc_u32 s19, s19, s20
	s_mul_i32 s14, s12, s19
	s_mul_hi_u32 s15, s12, s21
	s_add_i32 s14, s15, s14
	s_mul_i32 s18, s18, s21
	s_add_i32 s14, s14, s18
	s_mul_i32 s12, s12, s21
	s_mul_hi_u32 s18, s19, s12
	s_mul_i32 s20, s19, s12
	s_mul_i32 s24, s21, s14
	s_mul_hi_u32 s12, s21, s12
	s_mul_hi_u32 s23, s21, s14
	s_add_u32 s12, s12, s24
	s_addc_u32 s23, 0, s23
	s_add_u32 s12, s12, s20
	s_mul_hi_u32 s15, s19, s14
	s_addc_u32 s12, s23, s18
	s_addc_u32 s15, s15, 0
	s_mul_i32 s14, s19, s14
	s_add_u32 s12, s12, s14
	s_addc_u32 s18, 0, s15
	s_add_u32 s20, s21, s12
	s_cselect_b64 s[14:15], -1, 0
	s_cmp_lg_u64 s[14:15], 0
	s_addc_u32 s18, s19, s18
	s_ashr_i32 s14, s13, 31
	s_add_u32 s12, s5, s14
	s_mov_b32 s15, s14
	s_addc_u32 s13, s13, s14
	s_xor_b64 s[12:13], s[12:13], s[14:15]
	s_mul_i32 s21, s12, s18
	s_mul_hi_u32 s23, s12, s20
	s_mul_hi_u32 s19, s12, s18
	s_add_u32 s21, s23, s21
	s_addc_u32 s19, 0, s19
	s_mul_hi_u32 s24, s13, s20
	s_mul_i32 s20, s13, s20
	s_add_u32 s20, s21, s20
	s_mul_hi_u32 s23, s13, s18
	s_addc_u32 s19, s19, s24
	s_addc_u32 s20, s23, 0
	s_mul_i32 s18, s13, s18
	s_add_u32 s23, s19, s18
	s_addc_u32 s24, 0, s20
	s_mul_i32 s18, s6, s24
	s_mul_hi_u32 s19, s6, s23
	s_add_i32 s18, s19, s18
	s_mul_i32 s19, s7, s23
	s_add_i32 s25, s18, s19
	s_sub_i32 s20, s13, s25
	s_mul_i32 s18, s6, s23
	s_sub_u32 s12, s12, s18
	s_cselect_b64 s[18:19], -1, 0
	s_cmp_lg_u64 s[18:19], 0
	s_subb_u32 s26, s20, s7
	s_sub_u32 s27, s12, s6
	s_cselect_b64 s[20:21], -1, 0
	s_cmp_lg_u64 s[20:21], 0
	s_subb_u32 s20, s26, 0
	s_cmp_ge_u32 s20, s7
	s_cselect_b32 s21, -1, 0
	s_cmp_ge_u32 s27, s6
	s_cselect_b32 s26, -1, 0
	s_cmp_eq_u32 s20, s7
	s_cselect_b32 s20, s26, s21
	s_add_u32 s21, s23, 1
	s_addc_u32 s26, s24, 0
	s_add_u32 s27, s23, 2
	s_addc_u32 s28, s24, 0
	s_cmp_lg_u32 s20, 0
	s_cselect_b32 s20, s27, s21
	s_cselect_b32 s21, s28, s26
	s_cmp_lg_u64 s[18:19], 0
	s_subb_u32 s13, s13, s25
	s_cmp_ge_u32 s13, s7
	s_cselect_b32 s18, -1, 0
	s_cmp_ge_u32 s12, s6
	s_cselect_b32 s6, -1, 0
	s_cmp_eq_u32 s13, s7
	s_cselect_b32 s6, s6, s18
	s_cmp_lg_u32 s6, 0
	s_cselect_b32 s7, s21, s24
	s_cselect_b32 s6, s20, s23
	s_xor_b64 s[12:13], s[14:15], 0
	s_xor_b64 s[6:7], s[6:7], s[12:13]
	s_sub_u32 s6, s6, s12
	s_load_dwordx4 s[12:15], s[0:1], 0x44
	s_cbranch_execnz .LBB21_3
.LBB21_2:
	v_cvt_f32_u32_e32 v1, s22
	s_sub_i32 s6, 0, s22
	v_rcp_iflag_f32_e32 v1, v1
	s_nop 0
	v_mul_f32_e32 v1, 0x4f7ffffe, v1
	v_cvt_u32_f32_e32 v1, v1
	s_nop 0
	v_readfirstlane_b32 s7, v1
	s_mul_i32 s6, s6, s7
	s_mul_hi_u32 s6, s7, s6
	s_add_i32 s7, s7, s6
	s_mul_hi_u32 s6, s5, s7
	s_waitcnt lgkmcnt(0)
	s_mul_i32 s15, s6, s22
	s_sub_i32 s5, s5, s15
	s_add_i32 s7, s6, 1
	s_sub_i32 s15, s5, s22
	s_cmp_ge_u32 s5, s22
	s_cselect_b32 s6, s7, s6
	s_cselect_b32 s5, s15, s5
	s_add_i32 s7, s6, 1
	s_cmp_ge_u32 s5, s22
	s_cselect_b32 s6, s7, s6
.LBB21_3:
	s_add_i32 s5, s2, 1
	s_mul_hi_i32 s21, s11, s5
	s_mov_b32 s20, 0
	s_cmp_lg_u64 s[20:21], 0
	s_mul_i32 s5, s11, s5
	s_cbranch_scc0 .LBB21_21
; %bb.4:
	s_add_u32 s16, s22, 0
	s_addc_u32 s17, 0, 0
	s_xor_b64 s[18:19], s[16:17], 0
	v_cvt_f32_u32_e32 v1, s18
	v_cvt_f32_u32_e32 v2, s19
	s_sub_u32 s7, 0, s18
	s_waitcnt lgkmcnt(0)
	s_subb_u32 s15, 0, s19
	v_fmamk_f32 v1, v2, 0x4f800000, v1
	v_rcp_f32_e32 v1, v1
	s_nop 0
	v_mul_f32_e32 v1, 0x5f7ffffc, v1
	v_mul_f32_e32 v2, 0x2f800000, v1
	v_trunc_f32_e32 v2, v2
	v_fmamk_f32 v1, v2, 0xcf800000, v1
	v_cvt_u32_f32_e32 v2, v2
	v_cvt_u32_f32_e32 v1, v1
	v_readfirstlane_b32 s20, v2
	v_readfirstlane_b32 s23, v1
	s_mul_i32 s24, s7, s20
	s_mul_hi_u32 s26, s7, s23
	s_mul_i32 s25, s15, s23
	s_add_i32 s24, s26, s24
	s_add_i32 s24, s24, s25
	s_mul_i32 s27, s7, s23
	s_mul_i32 s26, s23, s24
	s_mul_hi_u32 s28, s23, s27
	s_mul_hi_u32 s25, s23, s24
	s_add_u32 s26, s28, s26
	s_addc_u32 s25, 0, s25
	s_mul_hi_u32 s29, s20, s27
	s_mul_i32 s27, s20, s27
	s_add_u32 s26, s26, s27
	s_mul_hi_u32 s28, s20, s24
	s_addc_u32 s25, s25, s29
	s_addc_u32 s26, s28, 0
	s_mul_i32 s24, s20, s24
	s_add_u32 s24, s25, s24
	s_addc_u32 s26, 0, s26
	s_add_u32 s23, s23, s24
	s_cselect_b64 s[24:25], -1, 0
	s_cmp_lg_u64 s[24:25], 0
	s_addc_u32 s20, s20, s26
	s_mul_i32 s24, s7, s20
	s_mul_hi_u32 s25, s7, s23
	s_add_i32 s24, s25, s24
	s_mul_i32 s15, s15, s23
	s_add_i32 s24, s24, s15
	s_mul_i32 s7, s7, s23
	s_mul_hi_u32 s25, s20, s7
	s_mul_i32 s26, s20, s7
	s_mul_i32 s28, s23, s24
	s_mul_hi_u32 s7, s23, s7
	s_mul_hi_u32 s27, s23, s24
	s_add_u32 s7, s7, s28
	s_addc_u32 s27, 0, s27
	s_add_u32 s7, s7, s26
	s_mul_hi_u32 s15, s20, s24
	s_addc_u32 s7, s27, s25
	s_addc_u32 s15, s15, 0
	s_mul_i32 s24, s20, s24
	s_add_u32 s7, s7, s24
	s_addc_u32 s15, 0, s15
	s_add_u32 s7, s23, s7
	s_cselect_b64 s[24:25], -1, 0
	s_cmp_lg_u64 s[24:25], 0
	s_addc_u32 s15, s20, s15
	s_ashr_i32 s24, s21, 31
	s_add_u32 s20, s5, s24
	s_mov_b32 s25, s24
	s_addc_u32 s21, s21, s24
	s_xor_b64 s[20:21], s[20:21], s[24:25]
	s_mul_i32 s26, s20, s15
	s_mul_hi_u32 s27, s20, s7
	s_mul_hi_u32 s23, s20, s15
	s_add_u32 s26, s27, s26
	s_addc_u32 s23, 0, s23
	s_mul_hi_u32 s28, s21, s7
	s_mul_i32 s7, s21, s7
	s_add_u32 s7, s26, s7
	s_mul_hi_u32 s27, s21, s15
	s_addc_u32 s7, s23, s28
	s_addc_u32 s23, s27, 0
	s_mul_i32 s15, s21, s15
	s_add_u32 s7, s7, s15
	s_addc_u32 s15, 0, s23
	s_mul_i32 s23, s18, s15
	s_mul_hi_u32 s26, s18, s7
	s_add_i32 s23, s26, s23
	s_mul_i32 s26, s19, s7
	s_add_i32 s23, s23, s26
	s_sub_i32 s28, s21, s23
	s_mul_i32 s26, s18, s7
	s_sub_u32 s20, s20, s26
	s_cselect_b64 s[26:27], -1, 0
	s_cmp_lg_u64 s[26:27], 0
	s_subb_u32 s30, s28, s19
	s_sub_u32 s31, s20, s18
	s_cselect_b64 s[28:29], -1, 0
	s_cmp_lg_u64 s[28:29], 0
	s_subb_u32 s28, s30, 0
	s_cmp_ge_u32 s28, s19
	s_cselect_b32 s29, -1, 0
	s_cmp_ge_u32 s31, s18
	s_cselect_b32 s30, -1, 0
	s_cmp_eq_u32 s28, s19
	s_cselect_b32 s28, s30, s29
	s_add_u32 s29, s7, 1
	s_addc_u32 s30, s15, 0
	s_add_u32 s31, s7, 2
	s_addc_u32 s33, s15, 0
	s_cmp_lg_u32 s28, 0
	s_cselect_b32 s28, s31, s29
	s_cselect_b32 s29, s33, s30
	s_cmp_lg_u64 s[26:27], 0
	s_subb_u32 s21, s21, s23
	s_cmp_ge_u32 s21, s19
	s_cselect_b32 s23, -1, 0
	s_cmp_ge_u32 s20, s18
	s_cselect_b32 s18, -1, 0
	s_cmp_eq_u32 s21, s19
	s_cselect_b32 s18, s18, s23
	s_cmp_lg_u32 s18, 0
	s_cselect_b32 s19, s29, s15
	s_cselect_b32 s18, s28, s7
	s_xor_b64 s[20:21], s[24:25], 0
	s_xor_b64 s[18:19], s[18:19], s[20:21]
	s_sub_u32 s18, s18, s20
	s_cbranch_execnz .LBB21_6
.LBB21_5:
	v_cvt_f32_u32_e32 v1, s22
	s_sub_i32 s7, 0, s22
	v_rcp_iflag_f32_e32 v1, v1
	s_nop 0
	v_mul_f32_e32 v1, 0x4f7ffffe, v1
	v_cvt_u32_f32_e32 v1, v1
	s_waitcnt lgkmcnt(0)
	v_readfirstlane_b32 s15, v1
	s_mul_i32 s7, s7, s15
	s_mul_hi_u32 s7, s15, s7
	s_add_i32 s15, s15, s7
	s_mul_hi_u32 s7, s5, s15
	s_mul_i32 s16, s7, s22
	s_sub_i32 s5, s5, s16
	s_add_i32 s15, s7, 1
	s_sub_i32 s16, s5, s22
	s_cmp_ge_u32 s5, s22
	s_cselect_b32 s7, s15, s7
	s_cselect_b32 s5, s16, s5
	s_add_i32 s15, s7, 1
	s_cmp_ge_u32 s5, s22
	s_cselect_b32 s18, s15, s7
.LBB21_6:
	s_cmp_eq_u32 s6, s18
	s_waitcnt lgkmcnt(0)
	s_mul_hi_u32 s5, s6, s12
	s_cselect_b64 s[16:17], -1, 0
	s_add_i32 s5, s5, s6
	s_lshr_b32 s7, s5, s13
	s_mul_i32 s5, s7, s14
	s_cmp_eq_u32 s5, s6
	s_mul_hi_u32 s5, s18, s12
	s_cselect_b64 s[20:21], -1, 0
	s_add_i32 s5, s5, s18
	s_lshr_b32 s5, s5, s13
	s_cmp_eq_u32 s7, s5
	s_mul_i32 s5, s5, s14
	s_cselect_b64 s[24:25], -1, 0
	s_cmp_lg_u32 s5, s18
	s_cselect_b64 s[18:19], -1, 0
	s_and_b64 s[18:19], s[24:25], s[18:19]
	s_or_b64 s[16:17], s[16:17], s[20:21]
	s_or_b64 s[16:17], s[16:17], s[18:19]
	s_and_b64 vcc, exec, s[16:17]
	s_cbranch_vccnz .LBB21_23
; %bb.7:
	s_load_dwordx8 s[24:31], s[0:1], 0x20
	s_load_dword s15, s[0:1], 0x40
	s_waitcnt lgkmcnt(0)
	s_mul_hi_u32 s5, s6, s24
	s_add_i32 s5, s5, s6
	s_lshr_b32 s5, s5, s25
	s_mul_i32 s16, s5, s26
	s_sub_i32 s16, s6, s16
	s_mul_hi_u32 s17, s16, s27
	s_add_i32 s17, s16, s17
	s_lshr_b32 s21, s17, s28
	s_mul_i32 s17, s21, s29
	s_sub_i32 s16, s16, s17
	;; [unrolled: 5-line block ×3, first 2 shown]
	s_mul_hi_u32 s16, s15, s12
	s_add_i32 s15, s15, s16
	s_lshr_b32 s23, s15, s13
	s_lshl_b32 s15, s23, 1
	s_add_i32 s15, s15, s3
	s_cmp_lt_i32 s15, s8
	s_cselect_b64 s[16:17], -1, 0
	s_add_i32 s15, s20, s4
	s_cmp_lt_i32 s15, s10
	s_cselect_b64 s[18:19], -1, 0
	s_and_b64 s[16:17], s[16:17], s[18:19]
	s_andn2_b64 vcc, exec, s[16:17]
	s_cbranch_vccnz .LBB21_23
; %bb.8:
	s_load_dwordx4 s[16:19], s[0:1], 0x0
	s_mov_b32 s0, 0
	s_lshl_b32 s24, s22, 3
	s_mov_b32 s25, s0
	s_add_i32 s15, s3, s4
	s_waitcnt lgkmcnt(0)
	v_mov_b32_e32 v2, s16
	v_mov_b32_e32 v3, s17
	s_lshl_b64 s[16:17], s[24:25], 2
	s_add_u32 s16, s18, s16
	s_mul_i32 s1, s5, s8
	s_addc_u32 s17, s19, s17
	s_add_i32 s1, s1, s3
	s_mul_i32 s1, s1, s9
	s_mul_i32 s21, s21, s10
	s_add_i32 s1, s1, s4
	s_add_i32 s1, s1, s21
	s_mul_i32 s5, s9, s23
	s_add_i32 s1, s1, s20
	s_lshl_b32 s5, s5, 8
	s_lshl_b32 s1, s1, 7
	s_add_i32 s5, s5, s1
	v_or_b32_e32 v4, s5, v0
	v_ashrrev_i32_e32 v5, 31, v4
	v_lshl_add_u64 v[2:3], v[4:5], 2, v[2:3]
	global_load_dword v1, v[2:3], off
	v_cvt_f32_u32_e32 v4, s22
	s_lshl_b32 s1, s2, 1
	s_add_i32 s4, s1, s15
	s_ashr_i32 s5, s4, 31
	s_lshl_b64 s[4:5], s[4:5], 3
	v_rcp_iflag_f32_e32 v4, v4
	s_add_u32 s4, s18, s4
	s_addc_u32 s5, s19, s5
	s_load_dwordx2 s[4:5], s[4:5], 0x0
	v_mul_f32_e32 v4, 0x4f7ffffe, v4
	v_cvt_u32_f32_e32 v7, v4
	s_add_i32 s24, s2, -1
	v_lshl_or_b32 v6, s15, 7, v0
	s_waitcnt lgkmcnt(0)
	v_mov_b32_e32 v0, s5
	v_mov_b32_e32 v9, s4
	s_mov_b32 s10, 0x3fb8aa3b
	s_mov_b32 s20, 0xc2ce8ed0
	;; [unrolled: 1-line block ×4, first 2 shown]
	v_mov_b32_e32 v8, 0x7f800000
	s_mul_hi_i32 s1, s24, s11
	s_cmp_lg_u64 s[0:1], 0
	s_mul_i32 s8, s24, s11
	s_cbranch_scc0 .LBB21_19
.LBB21_9:
	s_add_u32 s2, s22, 0
	s_addc_u32 s3, 0, 0
	s_xor_b64 s[2:3], s[2:3], 0
	v_cvt_f32_u32_e32 v4, s2
	v_cvt_f32_u32_e32 v5, s3
	s_sub_u32 s9, 0, s2
	s_subb_u32 s25, 0, s3
	v_fmac_f32_e32 v4, 0x4f800000, v5
	v_rcp_f32_e32 v4, v4
	s_nop 0
	v_mul_f32_e32 v4, 0x5f7ffffc, v4
	v_mul_f32_e32 v5, 0x2f800000, v4
	v_trunc_f32_e32 v5, v5
	v_fmac_f32_e32 v4, 0xcf800000, v5
	v_cvt_u32_f32_e32 v5, v5
	v_cvt_u32_f32_e32 v4, v4
	v_readfirstlane_b32 s26, v5
	v_readfirstlane_b32 s4, v4
	s_mul_i32 s5, s9, s26
	s_mul_hi_u32 s28, s9, s4
	s_mul_i32 s27, s25, s4
	s_add_i32 s5, s28, s5
	s_mul_i32 s29, s9, s4
	s_add_i32 s5, s5, s27
	s_mul_i32 s28, s4, s5
	s_mul_hi_u32 s30, s4, s29
	s_mul_hi_u32 s27, s4, s5
	s_add_u32 s28, s30, s28
	s_addc_u32 s27, 0, s27
	s_mul_hi_u32 s31, s26, s29
	s_mul_i32 s29, s26, s29
	s_add_u32 s28, s28, s29
	s_mul_hi_u32 s30, s26, s5
	s_addc_u32 s27, s27, s31
	s_addc_u32 s28, s30, 0
	s_mul_i32 s5, s26, s5
	s_add_u32 s5, s27, s5
	s_addc_u32 s27, 0, s28
	s_add_u32 s28, s4, s5
	s_cselect_b64 s[4:5], -1, 0
	s_cmp_lg_u64 s[4:5], 0
	s_addc_u32 s26, s26, s27
	s_mul_i32 s4, s9, s26
	s_mul_hi_u32 s5, s9, s28
	s_add_i32 s4, s5, s4
	s_mul_i32 s25, s25, s28
	s_add_i32 s4, s4, s25
	s_mul_i32 s9, s9, s28
	s_mul_hi_u32 s25, s26, s9
	s_mul_i32 s27, s26, s9
	s_mul_i32 s30, s28, s4
	s_mul_hi_u32 s9, s28, s9
	s_mul_hi_u32 s29, s28, s4
	s_add_u32 s9, s9, s30
	s_addc_u32 s29, 0, s29
	s_add_u32 s9, s9, s27
	s_mul_hi_u32 s5, s26, s4
	s_addc_u32 s9, s29, s25
	s_addc_u32 s5, s5, 0
	s_mul_i32 s4, s26, s4
	s_add_u32 s4, s9, s4
	s_addc_u32 s9, 0, s5
	s_add_u32 s25, s28, s4
	s_cselect_b64 s[4:5], -1, 0
	s_cmp_lg_u64 s[4:5], 0
	s_addc_u32 s9, s26, s9
	s_ashr_i32 s4, s1, 31
	s_add_u32 s26, s8, s4
	s_mov_b32 s5, s4
	s_addc_u32 s27, s1, s4
	s_xor_b64 s[26:27], s[26:27], s[4:5]
	s_mul_i32 s28, s26, s9
	s_mul_hi_u32 s29, s26, s25
	s_mul_hi_u32 s1, s26, s9
	s_add_u32 s28, s29, s28
	s_addc_u32 s1, 0, s1
	s_mul_hi_u32 s30, s27, s25
	s_mul_i32 s25, s27, s25
	s_add_u32 s25, s28, s25
	s_mul_hi_u32 s29, s27, s9
	s_addc_u32 s1, s1, s30
	s_addc_u32 s25, s29, 0
	s_mul_i32 s9, s27, s9
	s_add_u32 s1, s1, s9
	s_addc_u32 s9, 0, s25
	s_mul_i32 s25, s2, s9
	s_mul_hi_u32 s28, s2, s1
	s_add_i32 s25, s28, s25
	s_mul_i32 s28, s3, s1
	s_add_i32 s25, s25, s28
	s_sub_i32 s30, s27, s25
	s_mul_i32 s28, s2, s1
	s_sub_u32 s26, s26, s28
	s_cselect_b64 s[28:29], -1, 0
	s_cmp_lg_u64 s[28:29], 0
	s_subb_u32 s33, s30, s3
	s_sub_u32 s34, s26, s2
	s_cselect_b64 s[30:31], -1, 0
	s_cmp_lg_u64 s[30:31], 0
	s_subb_u32 s30, s33, 0
	s_cmp_ge_u32 s30, s3
	s_cselect_b32 s31, -1, 0
	s_cmp_ge_u32 s34, s2
	s_cselect_b32 s33, -1, 0
	s_cmp_eq_u32 s30, s3
	s_cselect_b32 s30, s33, s31
	s_add_u32 s31, s1, 1
	s_addc_u32 s33, s9, 0
	s_add_u32 s34, s1, 2
	s_addc_u32 s35, s9, 0
	s_cmp_lg_u32 s30, 0
	s_cselect_b32 s30, s34, s31
	s_cselect_b32 s31, s35, s33
	s_cmp_lg_u64 s[28:29], 0
	s_subb_u32 s25, s27, s25
	s_cmp_ge_u32 s25, s3
	s_cselect_b32 s27, -1, 0
	s_cmp_ge_u32 s26, s2
	s_cselect_b32 s2, -1, 0
	s_cmp_eq_u32 s25, s3
	s_cselect_b32 s2, s2, s27
	s_cmp_lg_u32 s2, 0
	s_cselect_b32 s3, s31, s9
	s_cselect_b32 s2, s30, s1
	s_xor_b64 s[4:5], s[4:5], 0
	s_xor_b64 s[2:3], s[2:3], s[4:5]
	s_sub_u32 s4, s2, s4
	s_cbranch_execnz .LBB21_11
.LBB21_10:
	s_sub_i32 s1, 0, s22
	v_readfirstlane_b32 s2, v7
	s_mul_i32 s1, s1, s2
	s_mul_hi_u32 s1, s2, s1
	s_add_i32 s2, s2, s1
	s_mul_hi_u32 s1, s8, s2
	s_mul_i32 s3, s1, s22
	s_sub_i32 s3, s8, s3
	s_add_i32 s2, s1, 1
	s_sub_i32 s4, s3, s22
	s_cmp_ge_u32 s3, s22
	s_cselect_b32 s1, s2, s1
	s_cselect_b32 s3, s4, s3
	s_add_i32 s2, s1, 1
	s_cmp_ge_u32 s3, s22
	s_cselect_b32 s4, s2, s1
.LBB21_11:
	s_cmp_lg_u32 s6, s4
	s_cbranch_scc0 .LBB21_15
; %bb.12:
	s_add_i32 s1, s24, s22
	s_lshl_b32 s1, s1, 1
	s_add_i32 s2, s1, s15
	s_mov_b32 s3, s0
	s_lshl_b64 s[2:3], s[2:3], 3
	s_add_u32 s8, s18, s2
	s_mul_hi_u32 s1, s4, s12
	s_addc_u32 s9, s19, s3
	s_add_i32 s1, s1, s4
	s_lshr_b32 s1, s1, s13
	s_mul_i32 s2, s1, s14
	s_cmp_eq_u32 s2, s4
	s_cselect_b64 s[2:3], -1, 0
	s_cmp_lt_u32 s1, s7
	s_cselect_b64 s[26:27], -1, 0
	s_or_b64 s[26:27], s[26:27], s[2:3]
	s_mov_b64 s[2:3], -1
	s_and_b64 vcc, exec, s[26:27]
	s_mov_b32 s1, s24
	s_mov_b32 s25, s6
	s_cbranch_vccnz .LBB21_14
; %bb.13:
	s_add_i32 s1, s24, -1
	s_mov_b64 s[2:3], 0
	s_mov_b32 s25, s4
.LBB21_14:
	v_lshl_add_u32 v4, s24, 8, v6
	v_ashrrev_i32_e32 v5, 31, v4
	v_lshl_add_u64 v[4:5], v[4:5], 2, s[16:17]
	global_load_dword v5, v[4:5], off
	s_load_dwordx2 s[4:5], s[8:9], 0x0
	v_max_f32_e32 v4, v9, v9
	s_waitcnt lgkmcnt(0)
	v_max_f32_e64 v10, s4, s4
	v_max_f32_e32 v10, v4, v10
	v_sub_f32_e32 v11, v9, v10
	v_sub_f32_e32 v13, s4, v10
	v_mul_f32_e32 v4, 0x3fb8aa3b, v11
	v_mul_f32_e32 v12, 0x3fb8aa3b, v13
	v_fma_f32 v14, v11, s10, -v4
	v_rndne_f32_e32 v15, v4
	v_fma_f32 v16, v13, s10, -v12
	v_rndne_f32_e32 v17, v12
	v_fmac_f32_e32 v14, 0x32a5705f, v11
	v_sub_f32_e32 v4, v4, v15
	v_fmac_f32_e32 v16, 0x32a5705f, v13
	v_sub_f32_e32 v12, v12, v17
	v_add_f32_e32 v4, v4, v14
	v_cvt_i32_f32_e32 v15, v15
	v_add_f32_e32 v12, v12, v16
	v_exp_f32_e32 v14, v4
	v_cvt_i32_f32_e32 v17, v17
	v_exp_f32_e32 v12, v12
	v_cmp_ngt_f32_e32 vcc, s20, v11
	v_ldexp_f32 v14, v14, v15
	v_mov_b32_e32 v4, s5
	v_ldexp_f32 v12, v12, v17
	v_cndmask_b32_e32 v14, 0, v14, vcc
	v_cmp_ngt_f32_e32 vcc, s20, v13
	s_nop 1
	v_cndmask_b32_e32 v12, 0, v12, vcc
	v_cmp_nlt_f32_e32 vcc, s21, v11
	s_nop 1
	v_cndmask_b32_e32 v14, v8, v14, vcc
	v_cmp_nlt_f32_e32 vcc, s21, v13
	s_nop 1
	v_cndmask_b32_e32 v15, v8, v12, vcc
	v_cmp_le_f32_e32 vcc, s23, v11
	s_nop 1
	v_cndmask_b32_e32 v12, 0, v14, vcc
	v_cmp_le_f32_e32 vcc, s23, v13
	s_nop 1
	v_cndmask_b32_e32 v14, 0, v15, vcc
	s_waitcnt vmcnt(0)
	v_pk_mul_f32 v[4:5], v[4:5], v[14:15] op_sel_hi:[1,0]
	s_nop 0
	v_pk_fma_f32 v[4:5], v[0:1], v[12:13], v[4:5] op_sel_hi:[1,0,1]
	s_cbranch_execz .LBB21_16
	s_branch .LBB21_17
.LBB21_15:
                                        ; implicit-def: $vgpr4_vgpr5
                                        ; implicit-def: $sgpr2_sgpr3
                                        ; implicit-def: $vgpr10
                                        ; implicit-def: $sgpr1
                                        ; implicit-def: $sgpr25
.LBB21_16:
	s_add_i32 s1, s24, -1
	s_mov_b64 s[2:3], 0
	s_mov_b32 s25, s6
	v_mov_b32_e32 v10, v9
	s_waitcnt vmcnt(0)
	v_mov_b64_e32 v[4:5], v[0:1]
.LBB21_17:
	s_andn2_b64 vcc, exec, s[2:3]
	s_cbranch_vccz .LBB21_22
; %bb.18:
	s_mov_b32 s6, s25
	s_mov_b32 s24, s1
	v_mov_b32_e32 v9, v10
	s_waitcnt vmcnt(0)
	v_mov_b64_e32 v[0:1], v[4:5]
	s_mul_hi_i32 s1, s24, s11
	s_cmp_lg_u64 s[0:1], 0
	s_mul_i32 s8, s24, s11
	s_cbranch_scc1 .LBB21_9
.LBB21_19:
                                        ; implicit-def: $sgpr4_sgpr5
	s_branch .LBB21_10
.LBB21_20:
                                        ; implicit-def: $sgpr6_sgpr7
	s_load_dwordx4 s[12:15], s[0:1], 0x44
	s_branch .LBB21_2
.LBB21_21:
                                        ; implicit-def: $sgpr18_sgpr19
	s_branch .LBB21_5
.LBB21_22:
	v_div_scale_f32 v0, s[0:1], v4, v4, v5
	s_waitcnt vmcnt(0)
	v_rcp_f32_e32 v1, v0
	v_div_scale_f32 v6, vcc, v5, v4, v5
	v_fma_f32 v7, -v0, v1, 1.0
	v_fmac_f32_e32 v1, v7, v1
	v_mul_f32_e32 v7, v6, v1
	v_fma_f32 v8, -v0, v7, v6
	v_fmac_f32_e32 v7, v8, v1
	v_fma_f32 v0, -v0, v7, v6
	v_div_fmas_f32 v0, v0, v1, v7
	v_div_fixup_f32 v0, v0, v4, v5
	global_store_dword v[2:3], v0, off
.LBB21_23:
	s_endpgm
	.section	.rodata,"a",@progbits
	.p2align	6, 0x0
	.amdhsa_kernel _ZL33flash_attn_stream_k_fixup_generalILi128ELi2ELi1EEvPfPK15HIP_vector_typeIfLj2EEiiiiS1_IjLj3EES5_S5_S5_
		.amdhsa_group_segment_fixed_size 0
		.amdhsa_private_segment_fixed_size 0
		.amdhsa_kernarg_size 336
		.amdhsa_user_sgpr_count 2
		.amdhsa_user_sgpr_dispatch_ptr 0
		.amdhsa_user_sgpr_queue_ptr 0
		.amdhsa_user_sgpr_kernarg_segment_ptr 1
		.amdhsa_user_sgpr_dispatch_id 0
		.amdhsa_user_sgpr_kernarg_preload_length 0
		.amdhsa_user_sgpr_kernarg_preload_offset 0
		.amdhsa_user_sgpr_private_segment_size 0
		.amdhsa_uses_dynamic_stack 0
		.amdhsa_enable_private_segment 0
		.amdhsa_system_sgpr_workgroup_id_x 1
		.amdhsa_system_sgpr_workgroup_id_y 1
		.amdhsa_system_sgpr_workgroup_id_z 1
		.amdhsa_system_sgpr_workgroup_info 0
		.amdhsa_system_vgpr_workitem_id 0
		.amdhsa_next_free_vgpr 18
		.amdhsa_next_free_sgpr 36
		.amdhsa_accum_offset 20
		.amdhsa_reserve_vcc 1
		.amdhsa_float_round_mode_32 0
		.amdhsa_float_round_mode_16_64 0
		.amdhsa_float_denorm_mode_32 3
		.amdhsa_float_denorm_mode_16_64 3
		.amdhsa_dx10_clamp 1
		.amdhsa_ieee_mode 1
		.amdhsa_fp16_overflow 0
		.amdhsa_tg_split 0
		.amdhsa_exception_fp_ieee_invalid_op 0
		.amdhsa_exception_fp_denorm_src 0
		.amdhsa_exception_fp_ieee_div_zero 0
		.amdhsa_exception_fp_ieee_overflow 0
		.amdhsa_exception_fp_ieee_underflow 0
		.amdhsa_exception_fp_ieee_inexact 0
		.amdhsa_exception_int_div_zero 0
	.end_amdhsa_kernel
	.section	.text._ZL33flash_attn_stream_k_fixup_generalILi128ELi2ELi1EEvPfPK15HIP_vector_typeIfLj2EEiiiiS1_IjLj3EES5_S5_S5_,"axG",@progbits,_ZL33flash_attn_stream_k_fixup_generalILi128ELi2ELi1EEvPfPK15HIP_vector_typeIfLj2EEiiiiS1_IjLj3EES5_S5_S5_,comdat
.Lfunc_end21:
	.size	_ZL33flash_attn_stream_k_fixup_generalILi128ELi2ELi1EEvPfPK15HIP_vector_typeIfLj2EEiiiiS1_IjLj3EES5_S5_S5_, .Lfunc_end21-_ZL33flash_attn_stream_k_fixup_generalILi128ELi2ELi1EEvPfPK15HIP_vector_typeIfLj2EEiiiiS1_IjLj3EES5_S5_S5_
                                        ; -- End function
	.set _ZL33flash_attn_stream_k_fixup_generalILi128ELi2ELi1EEvPfPK15HIP_vector_typeIfLj2EEiiiiS1_IjLj3EES5_S5_S5_.num_vgpr, 18
	.set _ZL33flash_attn_stream_k_fixup_generalILi128ELi2ELi1EEvPfPK15HIP_vector_typeIfLj2EEiiiiS1_IjLj3EES5_S5_S5_.num_agpr, 0
	.set _ZL33flash_attn_stream_k_fixup_generalILi128ELi2ELi1EEvPfPK15HIP_vector_typeIfLj2EEiiiiS1_IjLj3EES5_S5_S5_.numbered_sgpr, 36
	.set _ZL33flash_attn_stream_k_fixup_generalILi128ELi2ELi1EEvPfPK15HIP_vector_typeIfLj2EEiiiiS1_IjLj3EES5_S5_S5_.num_named_barrier, 0
	.set _ZL33flash_attn_stream_k_fixup_generalILi128ELi2ELi1EEvPfPK15HIP_vector_typeIfLj2EEiiiiS1_IjLj3EES5_S5_S5_.private_seg_size, 0
	.set _ZL33flash_attn_stream_k_fixup_generalILi128ELi2ELi1EEvPfPK15HIP_vector_typeIfLj2EEiiiiS1_IjLj3EES5_S5_S5_.uses_vcc, 1
	.set _ZL33flash_attn_stream_k_fixup_generalILi128ELi2ELi1EEvPfPK15HIP_vector_typeIfLj2EEiiiiS1_IjLj3EES5_S5_S5_.uses_flat_scratch, 0
	.set _ZL33flash_attn_stream_k_fixup_generalILi128ELi2ELi1EEvPfPK15HIP_vector_typeIfLj2EEiiiiS1_IjLj3EES5_S5_S5_.has_dyn_sized_stack, 0
	.set _ZL33flash_attn_stream_k_fixup_generalILi128ELi2ELi1EEvPfPK15HIP_vector_typeIfLj2EEiiiiS1_IjLj3EES5_S5_S5_.has_recursion, 0
	.set _ZL33flash_attn_stream_k_fixup_generalILi128ELi2ELi1EEvPfPK15HIP_vector_typeIfLj2EEiiiiS1_IjLj3EES5_S5_S5_.has_indirect_call, 0
	.section	.AMDGPU.csdata,"",@progbits
; Kernel info:
; codeLenInByte = 2932
; TotalNumSgprs: 42
; NumVgprs: 18
; NumAgprs: 0
; TotalNumVgprs: 18
; ScratchSize: 0
; MemoryBound: 0
; FloatMode: 240
; IeeeMode: 1
; LDSByteSize: 0 bytes/workgroup (compile time only)
; SGPRBlocks: 5
; VGPRBlocks: 2
; NumSGPRsForWavesPerEU: 42
; NumVGPRsForWavesPerEU: 18
; AccumOffset: 20
; Occupancy: 8
; WaveLimiterHint : 0
; COMPUTE_PGM_RSRC2:SCRATCH_EN: 0
; COMPUTE_PGM_RSRC2:USER_SGPR: 2
; COMPUTE_PGM_RSRC2:TRAP_HANDLER: 0
; COMPUTE_PGM_RSRC2:TGID_X_EN: 1
; COMPUTE_PGM_RSRC2:TGID_Y_EN: 1
; COMPUTE_PGM_RSRC2:TGID_Z_EN: 1
; COMPUTE_PGM_RSRC2:TIDIG_COMP_CNT: 0
; COMPUTE_PGM_RSRC3_GFX90A:ACCUM_OFFSET: 4
; COMPUTE_PGM_RSRC3_GFX90A:TG_SPLIT: 0
	.section	.text._ZL18flash_attn_ext_vecILi128ELi2EL9ggml_type7ELS0_7ELb1EEvPKcS2_S2_S2_S2_PKiPfP15HIP_vector_typeIfLj2EEffffjfiS6_IjLj3EEiiiiiiiiiiiliiliiiiil,"axG",@progbits,_ZL18flash_attn_ext_vecILi128ELi2EL9ggml_type7ELS0_7ELb1EEvPKcS2_S2_S2_S2_PKiPfP15HIP_vector_typeIfLj2EEffffjfiS6_IjLj3EEiiiiiiiiiiiliiliiiiil,comdat
	.globl	_ZL18flash_attn_ext_vecILi128ELi2EL9ggml_type7ELS0_7ELb1EEvPKcS2_S2_S2_S2_PKiPfP15HIP_vector_typeIfLj2EEffffjfiS6_IjLj3EEiiiiiiiiiiiliiliiiiil ; -- Begin function _ZL18flash_attn_ext_vecILi128ELi2EL9ggml_type7ELS0_7ELb1EEvPKcS2_S2_S2_S2_PKiPfP15HIP_vector_typeIfLj2EEffffjfiS6_IjLj3EEiiiiiiiiiiiliiliiiiil
	.p2align	8
	.type	_ZL18flash_attn_ext_vecILi128ELi2EL9ggml_type7ELS0_7ELb1EEvPKcS2_S2_S2_S2_PKiPfP15HIP_vector_typeIfLj2EEffffjfiS6_IjLj3EEiiiiiiiiiiiliiliiiiil,@function
_ZL18flash_attn_ext_vecILi128ELi2EL9ggml_type7ELS0_7ELb1EEvPKcS2_S2_S2_S2_PKiPfP15HIP_vector_typeIfLj2EEffffjfiS6_IjLj3EEiiiiiiiiiiiliiliiiiil: ; @_ZL18flash_attn_ext_vecILi128ELi2EL9ggml_type7ELS0_7ELb1EEvPKcS2_S2_S2_S2_PKiPfP15HIP_vector_typeIfLj2EEffffjfiS6_IjLj3EEiiiiiiiiiiiliiliiiiil
; %bb.0:
	s_load_dwordx2 s[34:35], s[2:3], 0x64
	s_load_dwordx2 s[56:57], s[2:3], 0x80
	;; [unrolled: 1-line block ×3, first 2 shown]
	v_mov_b32_e32 v225, 1.0
	s_waitcnt lgkmcnt(0)
	v_cvt_f32_u32_e32 v1, s35
	s_sub_i32 s7, 0, s35
	v_rcp_iflag_f32_e32 v1, v1
	s_nop 0
	v_mul_f32_e32 v1, 0x4f7ffffe, v1
	v_cvt_u32_f32_e32 v1, v1
	s_nop 0
	v_readfirstlane_b32 s8, v1
	s_mul_i32 s7, s7, s8
	s_mul_hi_u32 s7, s8, s7
	s_add_i32 s8, s8, s7
	s_mul_hi_u32 s7, s6, s8
	s_mul_i32 s8, s7, s35
	s_sub_i32 s8, s6, s8
	s_add_i32 s9, s7, 1
	s_sub_i32 s12, s8, s35
	s_cmp_ge_u32 s8, s35
	s_cselect_b32 s7, s9, s7
	s_cselect_b32 s8, s12, s8
	s_add_i32 s9, s7, 1
	s_cmp_ge_u32 s8, s35
	s_cselect_b32 s72, s9, s7
	s_abs_i32 s7, s57
	v_cvt_f32_u32_e32 v1, s7
	s_mul_i32 s12, s72, s35
	s_sub_i32 s13, 0, s7
	s_sub_i32 s36, s6, s12
	v_rcp_iflag_f32_e32 v1, v1
	s_abs_i32 s9, s35
	s_xor_b32 s8, s35, s57
	s_ashr_i32 s8, s8, 31
	v_mul_f32_e32 v1, 0x4f7ffffe, v1
	v_cvt_u32_f32_e32 v1, v1
	s_nop 0
	v_readfirstlane_b32 s6, v1
	s_mul_i32 s13, s13, s6
	s_mul_hi_u32 s12, s6, s13
	s_add_i32 s6, s6, s12
	s_mul_hi_u32 s6, s9, s6
	s_mul_i32 s12, s6, s7
	s_sub_i32 s9, s9, s12
	s_add_i32 s13, s6, 1
	s_sub_i32 s12, s9, s7
	s_cmp_ge_u32 s9, s7
	s_cselect_b32 s6, s13, s6
	s_cselect_b32 s9, s12, s9
	s_add_i32 s12, s6, 1
	s_cmp_ge_u32 s9, s7
	s_cselect_b32 s6, s12, s6
	s_xor_b32 s6, s6, s8
	s_sub_i32 s41, s6, s8
	s_abs_i32 s10, s10
	s_abs_i32 s40, s41
	v_cvt_f32_u32_e32 v1, s10
	v_cvt_f32_u32_e32 v2, s40
	s_load_dwordx4 s[12:15], s[2:3], 0x40
	s_load_dwordx2 s[38:39], s[2:3], 0x50
	v_rcp_iflag_f32_e32 v1, v1
	v_rcp_iflag_f32_e32 v2, v2
	s_waitcnt lgkmcnt(0)
	v_cmp_le_f32_e64 s[6:7], s13, 0
	s_and_b64 vcc, exec, s[6:7]
	v_mul_f32_e32 v1, 0x4f7ffffe, v1
	v_mul_f32_e32 v2, 0x4f7ffffe, v2
	v_cvt_u32_f32_e32 v1, v1
	v_cvt_u32_f32_e32 v2, v2
	v_readfirstlane_b32 s42, v1
	v_readfirstlane_b32 s43, v2
	s_cbranch_vccnz .LBB22_2
; %bb.1:
	v_mov_b32_e32 v1, s38
	v_sub_co_u32_e32 v1, vcc, s36, v1
	v_mov_b32_e32 v2, s15
	v_mov_b32_e32 v3, s14
	s_add_i32 s6, s36, 1
	v_lshlrev_b32_e32 v1, 1, v1
	v_cndmask_b32_e32 v2, v2, v3, vcc
	v_or_b32_e32 v1, 1, v1
	v_mov_b32_e32 v3, s6
	v_cndmask_b32_e32 v1, v1, v3, vcc
	v_cvt_f32_i32_e32 v1, v1
	v_cmp_neq_f32_e32 vcc, 1.0, v2
	s_mov_b32 s6, 0x3f2aaaab
	s_movk_i32 s8, 0x204
	v_cndmask_b32_e32 v1, 1.0, v1, vcc
	v_cmp_neq_f32_e32 vcc, 0, v1
	s_mov_b32 s7, 0x42b17218
	s_mov_b32 s9, 0x3fb8aa3b
	v_cndmask_b32_e32 v18, 1.0, v2, vcc
	v_frexp_mant_f32_e64 v2, |v18|
	v_cmp_gt_f32_e32 vcc, s6, v2
	s_mov_b32 s6, 0x3f317218
	s_brev_b32 s16, -2
	v_cndmask_b32_e64 v3, 1.0, 2.0, vcc
	v_mul_f32_e32 v2, v2, v3
	v_add_f32_e32 v5, 1.0, v2
	v_rcp_f32_e32 v10, v5
	v_add_f32_e32 v3, -1.0, v5
	v_sub_f32_e32 v7, v2, v3
	v_add_f32_e32 v3, -1.0, v2
	v_mul_f32_e32 v11, v3, v10
	v_mul_f32_e32 v4, v5, v11
	v_fma_f32 v6, v11, v5, -v4
	v_fmac_f32_e32 v6, v11, v7
	v_add_f32_e32 v2, v4, v6
	v_sub_f32_e32 v5, v3, v2
	v_pk_add_f32 v[8:9], v[2:3], v[4:5] neg_lo:[0,1] neg_hi:[0,1]
	v_mov_b32_e32 v7, v2
	v_pk_add_f32 v[2:3], v[8:9], v[6:7] neg_lo:[0,1] neg_hi:[0,1]
	v_mov_b32_e32 v6, 0x3e91f4c4
	v_add_f32_e32 v2, v2, v3
	v_add_f32_e32 v2, v5, v2
	v_mul_f32_e32 v3, v10, v2
	v_add_f32_e32 v2, v11, v3
	v_sub_f32_e32 v4, v2, v11
	v_sub_f32_e32 v12, v3, v4
	v_mul_f32_e32 v3, v2, v2
	v_fma_f32 v5, v2, v2, -v3
	v_add_f32_e32 v4, v12, v12
	v_fmac_f32_e32 v5, v2, v4
	v_add_f32_e32 v4, v3, v5
	v_fmac_f32_e32 v6, 0x3e76c4e1, v4
	v_fmaak_f32 v6, v4, v6, 0x3ecccdef
	v_sub_f32_e32 v3, v4, v3
	v_sub_f32_e32 v13, v5, v3
	v_mul_f32_e32 v3, v4, v6
	v_fma_f32 v5, v4, v6, -v3
	v_fmac_f32_e32 v5, v13, v6
	v_add_f32_e32 v6, v3, v5
	v_add_f32_e32 v7, 0x3f2aaaaa, v6
	v_sub_f32_e32 v3, v6, v3
	v_sub_f32_e32 v3, v5, v3
	v_add_f32_e32 v5, 0xbf2aaaaa, v7
	v_add_f32_e32 v3, 0x31739010, v3
	v_sub_f32_e32 v5, v6, v5
	v_pk_mul_f32 v[8:9], v[2:3], v[4:5]
	v_pk_add_f32 v[10:11], v[2:3], v[4:5]
	v_fma_f32 v6, v4, v2, -v8
	v_fmac_f32_e32 v6, v4, v12
	v_mov_b32_e32 v9, v11
	v_fmac_f32_e32 v6, v13, v2
	v_pk_add_f32 v[4:5], v[8:9], v[6:7]
	v_ldexp_f32 v14, v12, 1
	v_sub_f32_e32 v3, v4, v8
	v_sub_f32_e32 v3, v6, v3
	;; [unrolled: 1-line block ×3, first 2 shown]
	v_add_f32_e32 v9, v11, v6
	v_pk_mul_f32 v[6:7], v[4:5], v[4:5] op_sel:[0,1] op_sel_hi:[1,0]
	v_cvt_f64_f32_e64 v[10:11], |v18|
	v_frexp_exp_i32_f64_e32 v7, v[10:11]
	v_subbrev_co_u32_e32 v7, vcc, 0, v7, vcc
	v_cvt_f32_i32_e32 v7, v7
	v_fma_f32 v8, v4, v5, -v6
	v_fmac_f32_e32 v8, v4, v9
	v_fmac_f32_e32 v8, v3, v5
	v_mul_f32_e32 v4, 0x3f317218, v7
	v_fma_f32 v3, v7, s6, -v4
	v_fmamk_f32 v10, v7, 0xb102e308, v3
	v_ldexp_f32 v11, v2, 1
	v_add_f32_e32 v5, v6, v8
	v_pk_add_f32 v[2:3], v[4:5], v[10:11]
	v_mov_b32_e32 v12, v5
	v_mov_b32_e32 v13, v3
	;; [unrolled: 1-line block ×3, first 2 shown]
	v_pk_add_f32 v[6:7], v[12:13], v[6:7] neg_lo:[0,1] neg_hi:[0,1]
	v_mov_b32_e32 v9, v5
	v_pk_add_f32 v[6:7], v[8:9], v[6:7] neg_lo:[0,1] neg_hi:[0,1]
	v_mov_b32_e32 v11, v2
	v_add_f32_e32 v5, v14, v6
	v_add_f32_e32 v5, v5, v7
	v_pk_add_f32 v[6:7], v[2:3], v[4:5] neg_lo:[0,1] neg_hi:[0,1]
	v_pk_add_f32 v[8:9], v[2:3], v[4:5]
	v_mov_b32_e32 v16, v3
	v_mov_b32_e32 v7, v9
	v_pk_add_f32 v[12:13], v[10:11], v[6:7] neg_lo:[0,1] neg_hi:[0,1]
	v_pk_add_f32 v[6:7], v[10:11], v[6:7]
	v_mov_b32_e32 v4, v5
	v_pk_add_f32 v[10:11], v[6:7], v[2:3] op_sel:[1,0] op_sel_hi:[0,1] neg_lo:[0,1] neg_hi:[0,1]
	v_pk_add_f32 v[14:15], v[8:9], v[10:11] op_sel_hi:[1,0] neg_lo:[0,1] neg_hi:[0,1]
	v_mov_b32_e32 v8, v9
	v_mov_b32_e32 v9, v7
	;; [unrolled: 1-line block ×3, first 2 shown]
	v_pk_add_f32 v[8:9], v[8:9], v[16:17] neg_lo:[0,1] neg_hi:[0,1]
	v_mov_b32_e32 v5, v2
	v_pk_add_f32 v[2:3], v[4:5], v[8:9] neg_lo:[0,1] neg_hi:[0,1]
	v_mov_b32_e32 v14, v12
	v_pk_add_f32 v[4:5], v[14:15], v[2:3]
	v_mov_b32_e32 v13, v7
	v_pk_add_f32 v[8:9], v[4:5], v[4:5] op_sel:[0,1] op_sel_hi:[1,0]
	s_mov_b32 s6, 0x7f800000
	v_pk_add_f32 v[6:7], v[6:7], v[8:9] op_sel:[1,0] op_sel_hi:[0,1]
	v_mov_b32_e32 v5, v6
	v_pk_add_f32 v[10:11], v[4:5], v[12:13] neg_lo:[0,1] neg_hi:[0,1]
	v_mov_b32_e32 v3, v8
	v_sub_f32_e32 v4, v4, v10
	v_pk_add_f32 v[2:3], v[2:3], v[10:11] neg_lo:[0,1] neg_hi:[0,1]
	v_sub_f32_e32 v4, v12, v4
	v_add_f32_e32 v2, v2, v4
	v_add_f32_e32 v2, v2, v3
	;; [unrolled: 1-line block ×3, first 2 shown]
	v_sub_f32_e32 v4, v3, v6
	v_sub_f32_e32 v2, v2, v4
	v_mul_f32_e32 v4, v1, v3
	v_fma_f32 v3, v1, v3, -v4
	v_fmac_f32_e32 v3, v1, v2
	v_add_f32_e32 v2, v4, v3
	v_cmp_class_f32_e64 vcc, v4, s8
	v_sub_f32_e32 v5, v2, v4
	v_sub_f32_e32 v3, v3, v5
	v_cndmask_b32_e32 v2, v2, v4, vcc
	v_mov_b32_e32 v4, 0x37000000
	v_cmp_eq_f32_e32 vcc, s7, v2
	v_cmp_class_f32_e64 s[14:15], v18, s8
	s_nop 0
	v_cndmask_b32_e32 v4, 0, v4, vcc
	v_sub_f32_e32 v5, v2, v4
	v_mul_f32_e32 v6, 0x3fb8aa3b, v5
	v_fma_f32 v7, v5, s9, -v6
	v_rndne_f32_e32 v8, v6
	v_fmamk_f32 v7, v5, 0x32a5705f, v7
	v_sub_f32_e32 v6, v6, v8
	v_add_f32_e32 v6, v6, v7
	v_exp_f32_e32 v6, v6
	v_cvt_i32_f32_e32 v7, v8
	v_cmp_neq_f32_e64 vcc, |v2|, s6
	s_mov_b32 s6, 0xc2ce8ed0
	s_nop 0
	v_cndmask_b32_e32 v2, 0, v3, vcc
	v_ldexp_f32 v3, v6, v7
	v_cmp_ngt_f32_e32 vcc, s6, v5
	v_add_f32_e32 v2, v4, v2
	v_mov_b32_e32 v4, 0x7f800000
	v_cndmask_b32_e32 v3, 0, v3, vcc
	v_cmp_nlt_f32_e32 vcc, s7, v5
	v_mov_b32_e32 v5, 0x7fc00000
	s_nop 0
	v_cndmask_b32_e32 v3, v4, v3, vcc
	v_fma_f32 v2, v3, v2, v3
	v_cmp_class_f32_e64 vcc, v3, s8
	v_cmp_gt_f32_e64 s[8:9], 0, v1
	s_nop 0
	v_cndmask_b32_e32 v2, v2, v3, vcc
	v_trunc_f32_e32 v3, v1
	v_cmp_eq_f32_e32 vcc, v3, v1
	v_mul_f32_e32 v3, 0.5, v1
	v_trunc_f32_e32 v6, v3
	v_cmp_neq_f32_e64 s[6:7], v6, v3
	s_and_b64 s[6:7], vcc, s[6:7]
	s_nop 0
	v_cndmask_b32_e64 v3, 1.0, v18, s[6:7]
	v_bfi_b32 v2, s16, v2, v3
	v_cndmask_b32_e32 v3, v5, v2, vcc
	v_cmp_gt_f32_e32 vcc, 0, v18
	s_nop 1
	v_cndmask_b32_e32 v2, v2, v3, vcc
	v_cmp_eq_f32_e32 vcc, 0, v18
	s_xor_b64 s[8:9], s[8:9], vcc
	v_cndmask_b32_e64 v1, v4, 0, s[8:9]
	v_cndmask_b32_e64 v3, 0, v18, s[6:7]
	v_bfi_b32 v1, s16, v1, v3
	s_or_b64 vcc, vcc, s[14:15]
	v_cndmask_b32_e32 v1, v2, v1, vcc
	v_cmp_o_f32_e32 vcc, v18, v18
	s_nop 1
	v_cndmask_b32_e32 v225, v5, v1, vcc
.LBB22_2:
	s_load_dwordx2 s[6:7], s[0:1], 0x4
	s_load_dwordx16 s[16:31], s[2:3], 0x0
	v_bfe_u32 v219, v0, 10, 10
	v_and_b32_e32 v218, 0x3ff, v0
	v_bfe_u32 v0, v0, 20, 10
	s_waitcnt lgkmcnt(0)
	s_lshr_b32 s0, s6, 16
	v_mul_u32_u24_e32 v1, s7, v219
	s_mul_i32 s0, s0, s7
	v_mad_u32_u24 v1, s0, v218, v1
	v_add_lshl_u32 v16, v1, v0, 4
	v_mov_b32_e32 v59, 0
	v_add_u32_e32 v0, 0x604, v16
	s_lshl_b32 s33, s4, 1
	ds_write2_b32 v0, v59, v59 offset1:1
	v_add_u32_e32 v0, 0x400, v16
	v_cmp_lt_u32_e64 s[0:1], 1, v219
	v_cmp_gt_u32_e32 vcc, 2, v219
	v_lshlrev_b32_e32 v220, 8, v219
	v_lshlrev_b32_e32 v224, 2, v218
	ds_write2_b32 v0, v59, v59 offset0:128 offset1:131
	s_and_saveexec_b64 s[6:7], vcc
	s_cbranch_execz .LBB22_13
; %bb.3:
	v_or_b32_e32 v0, s33, v219
	v_cmp_le_i32_e32 vcc, s34, v0
	v_add_u32_e32 v4, v220, v224
	s_and_saveexec_b64 s[8:9], vcc
	s_xor_b64 s[8:9], exec, s[8:9]
	s_cbranch_execz .LBB22_7
; %bb.4:
	v_cmp_gt_u32_e32 vcc, 4, v218
	v_mov_b32_e32 v0, 0
	ds_write_b32 v4, v0
	s_and_saveexec_b64 s[14:15], vcc
; %bb.5:
	v_add_u32_e32 v2, v4, v224
	v_mov_b32_e32 v1, v0
	ds_write_b64 v2, v[0:1] offset:128
; %bb.6:
	s_or_b64 exec, exec, s[14:15]
                                        ; implicit-def: $vgpr4
.LBB22_7:
	s_andn2_saveexec_b64 s[8:9], s[8:9]
	s_cbranch_execz .LBB22_13
; %bb.8:
	s_load_dwordx4 s[44:47], s[2:3], 0x70
	v_lshlrev_b32_e32 v2, 2, v224
	v_mov_b32_e32 v3, 0
	s_waitcnt lgkmcnt(0)
	s_mul_i32 s8, s72, s46
	s_mul_i32 s14, s44, s33
	;; [unrolled: 1-line block ×3, first 2 shown]
	s_add_i32 s8, s8, s14
	s_add_i32 s8, s8, s9
	s_ashr_i32 s9, s8, 31
	v_mul_lo_u32 v0, s44, v219
	s_add_u32 s8, s16, s8
	v_ashrrev_i32_e32 v1, 31, v0
	s_addc_u32 s9, s17, s9
	v_lshl_add_u64 v[0:1], s[8:9], 0, v[0:1]
	v_lshl_add_u64 v[0:1], v[0:1], 0, v[2:3]
	global_load_dwordx4 v[10:13], v[0:1], off
	v_mbcnt_lo_u32_b32 v0, -1, 0
	v_mbcnt_hi_u32_b32 v2, -1, v0
	v_and_b32_e32 v0, 0x60, v2
	v_xor_b32_e32 v1, 4, v2
	v_add_u32_e32 v9, 32, v0
	v_xor_b32_e32 v5, 2, v2
	v_cmp_lt_i32_e32 vcc, v1, v9
	v_xor_b32_e32 v6, 1, v2
	s_waitcnt vmcnt(0)
	v_mul_f32_e32 v8, s12, v10
	v_cndmask_b32_e32 v0, v2, v1, vcc
	v_cmp_lt_i32_e32 vcc, v5, v9
	v_mul_f32_e32 v7, s12, v12
	s_nop 0
	v_cndmask_b32_e32 v1, v2, v5, vcc
	v_lshlrev_b32_e32 v5, 2, v0
	v_lshlrev_b32_e32 v14, 2, v1
	v_mov_b32_e32 v0, v13
	v_mov_b32_e32 v1, v11
	v_pk_mul_f32 v[0:1], s[12:13], v[0:1] op_sel_hi:[0,1]
	v_max_f32_e64 v11, |v8|, |v1|
	v_max3_f32 v11, v11, |v7|, |v0|
	ds_bpermute_b32 v13, v5, v11
	v_fma_f32 v10, s12, v10, v1
	v_fmac_f32_e32 v10, s12, v12
	v_add_f32_e32 v10, v10, v0
	ds_bpermute_b32 v5, v5, v10
	s_waitcnt lgkmcnt(1)
	v_max_f32_e32 v12, v13, v13
	v_max_f32_e32 v11, v11, v12
	ds_bpermute_b32 v12, v14, v11
	v_cmp_lt_i32_e32 vcc, v6, v9
	s_waitcnt lgkmcnt(1)
	v_add_f32_e32 v5, v10, v5
	s_mov_b32 s12, 0x42fe0000
	v_cndmask_b32_e32 v2, v2, v6, vcc
	s_waitcnt lgkmcnt(0)
	v_max_f32_e32 v9, v12, v12
	v_lshlrev_b32_e32 v2, 2, v2
	v_max_f32_e32 v9, v11, v9
	ds_bpermute_b32 v6, v14, v5
	ds_bpermute_b32 v10, v2, v9
	s_waitcnt lgkmcnt(1)
	v_add_f32_e32 v5, v5, v6
	s_waitcnt lgkmcnt(0)
	v_max_f32_e32 v6, v10, v10
	v_max_f32_e32 v9, v9, v6
	v_div_scale_f32 v10, s[8:9], s12, s12, v9
	v_rcp_f32_e32 v11, v10
	ds_bpermute_b32 v6, v2, v5
	v_div_scale_f32 v2, vcc, v9, s12, v9
	v_fma_f32 v12, -v10, v11, 1.0
	v_fmac_f32_e32 v11, v12, v11
	v_mul_f32_e32 v12, v2, v11
	v_fma_f32 v13, -v10, v12, v2
	v_fmac_f32_e32 v12, v13, v11
	v_fma_f32 v2, -v10, v12, v2
	v_div_fmas_f32 v2, v2, v11, v12
	v_div_fixup_f32 v2, v2, s12, v9
	v_cmp_neq_f32_e32 vcc, 0, v2
	s_and_saveexec_b64 s[8:9], vcc
	s_cbranch_execz .LBB22_10
; %bb.9:
	v_div_scale_f32 v3, s[12:13], v2, v2, v8
	v_rcp_f32_e32 v9, v3
	v_div_scale_f32 v10, vcc, v8, v2, v8
	s_brev_b32 s14, -2
	v_fma_f32 v11, -v3, v9, 1.0
	v_fmac_f32_e32 v9, v11, v9
	v_mul_f32_e32 v11, v10, v9
	v_fma_f32 v12, -v3, v11, v10
	v_fmac_f32_e32 v11, v12, v9
	v_fma_f32 v3, -v3, v11, v10
	v_div_fmas_f32 v3, v3, v9, v11
	v_div_fixup_f32 v3, v3, v2, v8
	v_trunc_f32_e32 v8, v3
	v_sub_f32_e32 v9, v3, v8
	v_cmp_ge_f32_e64 s[12:13], |v9|, 0.5
	s_nop 1
	v_cndmask_b32_e64 v9, 0, 1.0, s[12:13]
	v_div_scale_f32 v10, s[12:13], v2, v2, v0
	v_rcp_f32_e32 v11, v10
	v_bfi_b32 v3, s14, v9, v3
	v_add_f32_e32 v3, v8, v3
	v_cvt_i32_f32_e32 v3, v3
	v_fma_f32 v8, -v10, v11, 1.0
	v_fmac_f32_e32 v11, v8, v11
	v_div_scale_f32 v8, vcc, v0, v2, v0
	v_mul_f32_e32 v9, v8, v11
	v_fma_f32 v12, -v10, v9, v8
	v_fmac_f32_e32 v9, v12, v11
	v_div_scale_f32 v12, s[12:13], v2, v2, v1
	v_rcp_f32_e32 v13, v12
	v_fma_f32 v8, -v10, v9, v8
	v_div_fmas_f32 v8, v8, v11, v9
	v_div_fixup_f32 v0, v8, v2, v0
	v_fma_f32 v9, -v12, v13, 1.0
	v_fmac_f32_e32 v13, v9, v13
	v_div_scale_f32 v9, vcc, v1, v2, v1
	v_mul_f32_e32 v10, v9, v13
	v_fma_f32 v11, -v12, v10, v9
	v_fmac_f32_e32 v10, v11, v13
	v_div_scale_f32 v11, s[12:13], v2, v2, v7
	v_rcp_f32_e32 v14, v11
	v_fma_f32 v9, -v12, v10, v9
	v_div_fmas_f32 v9, v9, v13, v10
	v_div_fixup_f32 v1, v9, v2, v1
	v_fma_f32 v10, -v11, v14, 1.0
	v_fmac_f32_e32 v14, v10, v14
	v_div_scale_f32 v10, vcc, v7, v2, v7
	v_mul_f32_e32 v12, v10, v14
	v_fma_f32 v13, -v11, v12, v10
	v_fmac_f32_e32 v12, v13, v14
	v_fma_f32 v10, -v11, v12, v10
	v_div_fmas_f32 v10, v10, v14, v12
	v_div_fixup_f32 v7, v10, v2, v7
	v_trunc_f32_e32 v10, v7
	v_sub_f32_e32 v11, v7, v10
	v_trunc_f32_e32 v8, v1
	v_cmp_ge_f32_e64 s[12:13], |v11|, 0.5
	v_sub_f32_e32 v9, v1, v8
	v_and_b32_e32 v3, 0xff, v3
	v_cndmask_b32_e64 v11, 0, 1.0, s[12:13]
	v_cmp_ge_f32_e64 s[12:13], |v9|, 0.5
	v_bfi_b32 v7, s14, v11, v7
	v_add_f32_e32 v7, v10, v7
	v_cndmask_b32_e64 v9, 0, 1.0, s[12:13]
	v_bfi_b32 v1, s14, v9, v1
	v_add_f32_e32 v1, v8, v1
	v_trunc_f32_e32 v8, v0
	v_sub_f32_e32 v9, v0, v8
	v_cmp_ge_f32_e64 s[12:13], |v9|, 0.5
	v_cvt_i32_f32_e32 v7, v7
	v_cvt_i32_f32_e32 v1, v1
	v_cndmask_b32_e64 v9, 0, 1.0, s[12:13]
	v_bfi_b32 v0, s14, v9, v0
	v_add_f32_e32 v0, v8, v0
	v_cvt_i32_f32_e32 v0, v0
	v_and_b32_e32 v7, 0xff, v7
	v_lshlrev_b32_e32 v7, 16, v7
	v_mov_b32_e32 v8, 8
	v_lshlrev_b32_sdwa v1, v8, v1 dst_sel:DWORD dst_unused:UNUSED_PAD src0_sel:DWORD src1_sel:BYTE_0
	v_lshl_or_b32 v0, v0, 24, v7
	v_or3_b32 v3, v0, v1, v3
.LBB22_10:
	s_or_b64 exec, exec, s[8:9]
	v_and_b32_e32 v0, 7, v218
	v_cmp_eq_u32_e32 vcc, 0, v0
	ds_write_b32 v4, v3
	s_and_saveexec_b64 s[8:9], vcc
	s_cbranch_execz .LBB22_12
; %bb.11:
	s_waitcnt lgkmcnt(1)
	v_add_f32_e32 v3, v5, v6
	v_add_u32_e32 v0, v220, v218
	ds_write_b64 v0, v[2:3] offset:128
.LBB22_12:
	s_or_b64 exec, exec, s[8:9]
.LBB22_13:
	s_or_b64 exec, exec, s[6:7]
	v_and_b32_e32 v71, 3, v218
	v_lshlrev_b32_e32 v40, 2, v71
	s_waitcnt lgkmcnt(0)
	s_barrier
	ds_read2_b32 v[42:43], v40 offset1:4
	ds_read2_b32 v[44:45], v40 offset0:8 offset1:12
	ds_read_b128 v[0:3], v59 offset:128
	ds_read_b128 v[4:7], v59 offset:144
	ds_read2_b32 v[46:47], v40 offset0:16 offset1:20
	ds_read2_b32 v[48:49], v40 offset0:24 offset1:28
	;; [unrolled: 1-line block ×5, first 2 shown]
	ds_read_b128 v[8:11], v59 offset:384
	ds_read_b128 v[12:15], v59 offset:400
	ds_read2_b32 v[56:57], v40 offset0:88 offset1:92
	s_cmp_eq_u64 s[26:27], 0
	s_mov_b32 s37, s56
	s_waitcnt lgkmcnt(0)
	s_barrier
	s_cbranch_scc1 .LBB22_15
; %bb.14:
	s_load_dword s6, s[2:3], 0xd0
	s_mov_b32 s7, 0
	s_waitcnt lgkmcnt(0)
	s_mul_i32 s6, s6, s72
	s_add_i32 s6, s6, s4
	s_lshl_b64 s[6:7], s[6:7], 2
	s_add_u32 s6, s26, s6
	s_addc_u32 s7, s27, s7
	s_load_dword s37, s[6:7], 0x0
.LBB22_15:
	v_lshlrev_b32_e32 v70, 5, v219
	v_add_u32_e32 v221, v70, v218
	s_lshl_b32 s26, s5, 7
	v_add_u32_e32 v223, 0x600, v16
	s_waitcnt lgkmcnt(0)
	s_cmp_ge_i32 s26, s37
	v_mbcnt_lo_u32_b32 v226, -1, 0
	v_lshlrev_b32_e32 v222, 1, v221
	s_cbranch_scc1 .LBB22_67
; %bb.16:
	s_sub_i32 s4, 0, s40
	s_sub_i32 s6, 0, s10
	s_load_dwordx2 s[60:61], s[2:3], 0x8c
	s_load_dwordx4 s[12:15], s[2:3], 0x98
	s_mul_i32 s4, s4, s43
	s_mul_i32 s6, s6, s42
	s_mul_hi_u32 s4, s43, s4
	s_mul_hi_u32 s6, s42, s6
	s_abs_i32 s7, s36
	s_add_i32 s43, s43, s4
	s_abs_i32 s9, s72
	s_add_i32 s42, s42, s6
	s_mul_hi_u32 s6, s7, s43
	s_mul_hi_u32 s27, s9, s42
	s_ashr_i32 s42, s36, 31
	s_ashr_i32 s41, s41, 31
	;; [unrolled: 1-line block ×3, first 2 shown]
	s_waitcnt lgkmcnt(0)
	s_mul_i32 s13, s13, s72
	s_mul_i32 s38, s12, s8
	s_xor_b32 s41, s42, s41
	s_mul_i32 s42, s6, s40
	s_mul_hi_u32 s4, s12, s72
	s_add_i32 s38, s38, s13
	s_sub_i32 s7, s7, s42
	s_add_i32 s4, s38, s4
	s_add_i32 s42, s6, 1
	s_sub_i32 s43, s7, s40
	s_cmp_ge_u32 s7, s40
	s_cselect_b32 s6, s42, s6
	s_cselect_b32 s7, s43, s7
	s_add_i32 s42, s6, 1
	s_cmp_ge_u32 s7, s40
	s_cselect_b32 s6, s42, s6
	s_xor_b32 s6, s6, s41
	s_sub_i32 s6, s6, s41
	s_mul_i32 s27, s27, s10
	s_mul_i32 s58, s6, s61
	;; [unrolled: 1-line block ×3, first 2 shown]
	s_sub_i32 s6, s9, s27
	s_ashr_i32 s59, s58, 31
	s_ashr_i32 s63, s62, 31
	s_sub_i32 s7, s6, s10
	s_cmp_ge_u32 s6, s10
	s_cselect_b32 s6, s7, s6
	s_sub_i32 s7, s6, s10
	s_load_dwordx2 s[16:17], s[2:3], 0xc8
	s_cmp_ge_u32 s6, s10
	s_cselect_b32 s6, s7, s6
	s_xor_b32 s6, s6, s8
	s_sub_i32 s9, s6, s8
	s_ashr_i32 s10, s9, 31
	s_load_dword s15, s[2:3], 0xd4
	s_load_dwordx2 s[6:7], s[2:3], 0xa8
	s_waitcnt lgkmcnt(0)
	s_mul_i32 s10, s16, s10
	s_mul_hi_u32 s27, s16, s9
	s_add_i32 s10, s27, s10
	s_mul_i32 s17, s17, s9
	s_mul_i32 s40, s11, s33
	s_add_i32 s50, s10, s17
	s_ashr_i32 s41, s40, 31
	s_cmp_lg_u64 s[22:23], 0
	s_cselect_b64 s[10:11], -1, 0
	s_lshl_b32 s42, s15, 7
	s_cmp_lt_i32 s33, s34
	s_mul_i32 s9, s16, s9
	s_cselect_b64 s[16:17], -1, 0
	s_and_b64 s[44:45], s[10:11], s[16:17]
	s_or_b32 s15, s33, 1
	s_cmp_lt_i32 s15, s34
	s_cselect_b64 s[16:17], -1, 0
	s_and_b64 s[46:47], s[10:11], s[16:17]
	s_ashr_i32 s57, s56, 31
	s_mov_b32 s27, 0
	s_add_u32 s64, s18, s58
	s_addc_u32 s65, s19, s59
	s_lshl_b64 s[10:11], s[26:27], 1
	s_add_u32 s15, s22, s10
	s_addc_u32 s16, s23, s11
	s_mov_b32 s43, s27
	s_add_u32 s68, s15, s9
	s_addc_u32 s69, s16, s50
	s_lshl_b64 s[48:49], s[42:43], 1
	s_add_u32 s9, s9, s10
	s_addc_u32 s10, s50, s11
	v_mul_lo_u32 v20, v70, s14
	s_add_u32 s70, s22, s9
	s_mul_i32 s13, s12, s72
	v_bfe_u32 v16, v218, 3, 27
	v_add_u32_e32 v24, s14, v20
	s_addc_u32 s71, s23, s10
	v_add_u32_e32 v30, s14, v24
	v_mov_b32_e32 v88, s72
	s_add_u32 s66, s64, s13
	v_mul_hi_u32_u24_e32 v17, 24, v16
	v_mul_u32_u24_e32 v16, 24, v16
	s_mul_i32 s7, s7, s72
	s_mul_i32 s8, s6, s8
	v_add_u32_e32 v34, s14, v30
	s_addc_u32 s67, s65, s4
	s_add_i32 s8, s8, s7
	v_mad_u64_u32 v[22:23], s[6:7], s6, v88, v[16:17]
	v_mov_b32_e32 v41, 0
	v_add_u32_e32 v38, s14, v34
	v_add_u32_e32 v23, s8, v23
	;; [unrolled: 1-line block ×3, first 2 shown]
	v_lshl_add_u64 v[26:27], v[22:23], 0, v[40:41]
	v_ashrrev_i32_e32 v73, 31, v72
	v_lshl_add_u64 v[64:65], v[22:23], 0, s[62:63]
	v_lshl_add_u64 v[68:69], v[26:27], 0, s[62:63]
	v_add_u32_e32 v74, s14, v72
	v_lshl_add_u64 v[58:59], v[64:65], 0, v[72:73]
	v_lshl_add_u64 v[98:99], v[68:69], 0, v[72:73]
	v_add_u32_e32 v72, 31, v70
	v_mul_lo_u32 v72, s14, v72
	v_ashrrev_i32_e32 v73, 31, v72
	v_lshl_add_u64 v[122:123], v[68:69], 0, v[72:73]
	v_lshl_add_u64 v[126:127], v[64:65], 0, v[72:73]
	v_add_u32_e32 v72, 30, v70
	v_mul_lo_u32 v72, s14, v72
	v_ashrrev_i32_e32 v73, 31, v72
	v_lshl_add_u64 v[128:129], v[68:69], 0, v[72:73]
	v_lshl_add_u64 v[132:133], v[64:65], 0, v[72:73]
	v_add_u32_e32 v72, 29, v70
	v_mul_lo_u32 v72, s14, v72
	v_add_u32_e32 v76, s14, v74
	v_ashrrev_i32_e32 v73, 31, v72
	v_add_u32_e32 v78, s14, v76
	v_lshl_add_u64 v[134:135], v[68:69], 0, v[72:73]
	v_lshl_add_u64 v[138:139], v[64:65], 0, v[72:73]
	v_add_u32_e32 v72, 28, v70
	v_add_u32_e32 v80, s14, v78
	v_mul_lo_u32 v72, s14, v72
	v_add_u32_e32 v82, s14, v80
	v_ashrrev_i32_e32 v73, 31, v72
	v_add_u32_e32 v84, s14, v82
	v_lshl_add_u64 v[140:141], v[68:69], 0, v[72:73]
	v_lshl_add_u64 v[144:145], v[64:65], 0, v[72:73]
	v_add_u32_e32 v72, 27, v70
	;; [unrolled: 8-line block ×3, first 2 shown]
	v_add_u32_e32 v60, s14, v62
	v_mul_lo_u32 v72, s14, v72
	v_ashrrev_i32_e32 v67, 31, v66
	v_ashrrev_i32_e32 v63, 31, v62
	;; [unrolled: 1-line block ×4, first 2 shown]
	v_add_u32_e32 v28, s14, v60
	v_lshl_add_u64 v[152:153], v[68:69], 0, v[72:73]
	v_lshl_add_u64 v[156:157], v[64:65], 0, v[72:73]
	v_add_u32_e32 v72, 25, v70
	v_lshl_add_u64 v[160:161], v[64:65], 0, v[66:67]
	v_lshl_add_u64 v[166:167], v[68:69], 0, v[66:67]
	;; [unrolled: 3-line block ×4, first 2 shown]
	v_add_u32_e32 v60, 19, v70
	v_mul_lo_u32 v72, s14, v72
	v_mul_lo_u32 v66, s14, v66
	;; [unrolled: 1-line block ×4, first 2 shown]
	v_add_u32_e32 v18, s14, v28
	v_ashrrev_i32_e32 v73, 31, v72
	v_ashrrev_i32_e32 v67, 31, v66
	;; [unrolled: 1-line block ×4, first 2 shown]
	v_lshl_add_u64 v[158:159], v[68:69], 0, v[72:73]
	v_lshl_add_u64 v[162:163], v[64:65], 0, v[72:73]
	v_add_u32_e32 v72, 24, v70
	v_lshl_add_u64 v[170:171], v[68:69], 0, v[66:67]
	v_lshl_add_u64 v[174:175], v[64:65], 0, v[66:67]
	v_add_u32_e32 v66, 22, v70
	;; [unrolled: 3-line block ×4, first 2 shown]
	v_mul_lo_u32 v72, s14, v72
	v_mul_lo_u32 v66, s14, v66
	;; [unrolled: 1-line block ×3, first 2 shown]
	v_ashrrev_i32_e32 v61, 31, v60
	v_ashrrev_i32_e32 v21, 31, v20
	;; [unrolled: 1-line block ×18, first 2 shown]
	v_lshl_add_u64 v[200:201], v[68:69], 0, v[60:61]
	v_lshl_add_u64 v[204:205], v[64:65], 0, v[60:61]
	v_mbcnt_hi_u32_b32 v60, -1, v226
	v_lshl_add_u64 v[16:17], v[22:23], 0, v[20:21]
	v_lshl_add_u64 v[20:21], v[26:27], 0, v[20:21]
	;; [unrolled: 1-line block ×19, first 2 shown]
	v_and_b32_e32 v65, 0x7c, v60
	v_lshl_add_u64 v[176:177], v[68:69], 0, v[66:67]
	v_add_u32_e32 v65, 4, v65
	v_xor_b32_e32 v67, 2, v60
	v_and_b32_e32 v61, 0x60, v60
	v_xor_b32_e32 v66, 1, v60
	v_cmp_lt_i32_e32 vcc, v67, v65
	v_lshl_add_u64 v[188:189], v[68:69], 0, v[62:63]
	v_add_u32_e32 v61, 32, v61
	v_xor_b32_e32 v62, 4, v60
	v_cndmask_b32_e32 v67, v60, v67, vcc
	v_cmp_lt_i32_e32 vcc, v66, v65
	v_xor_b32_e32 v63, 8, v60
	s_mul_i32 s22, s14, s26
	v_cndmask_b32_e32 v65, v60, v66, vcc
	v_cmp_lt_i32_e32 vcc, v62, v61
	s_mul_i32 s54, s42, s14
	v_mad_u64_u32 v[104:105], s[14:15], s12, v88, v[40:41]
	v_xor_b32_e32 v64, 16, v60
	v_cndmask_b32_e32 v66, v60, v62, vcc
	v_cmp_lt_i32_e32 vcc, v63, v61
	s_add_u32 s14, s20, s62
	v_cmp_eq_u32_e64 s[16:17], 0, v71
	v_cmp_eq_u32_e64 s[6:7], 1, v71
	v_cmp_eq_u32_e64 s[8:9], 2, v71
	v_cmp_eq_u32_e64 s[10:11], 3, v71
	v_cndmask_b32_e32 v71, v60, v63, vcc
	v_cmp_lt_i32_e32 vcc, v64, v61
	v_and_b32_e32 v61, 0x7c, v218
	s_addc_u32 s15, s21, s63
	v_cndmask_b32_e32 v60, v60, v64, vcc
	v_add_u32_e32 v64, v70, v61
	v_lshl_add_u64 v[16:17], s[14:15], 0, v[16:17]
	v_lshl_add_u64 v[24:25], v[68:69], 0, v[24:25]
	;; [unrolled: 1-line block ×3, first 2 shown]
	v_mul_lo_u32 v118, v64, s60
	v_lshl_add_u64 v[72:73], v[16:17], 0, 4
	v_lshl_add_u64 v[16:17], s[14:15], 0, v[20:21]
	v_lshl_add_u64 v[30:31], v[68:69], 0, v[30:31]
	v_lshl_add_u64 v[106:107], v[68:69], 0, v[74:75]
	v_add_u32_e32 v100, s60, v118
	v_lshl_add_u64 v[74:75], v[16:17], 0, 8
	v_lshl_add_u64 v[16:17], s[20:21], 0, v[24:25]
	;; [unrolled: 1-line block ×3, first 2 shown]
	v_ashrrev_i32_e32 v101, 31, v100
	v_add_u32_e32 v105, s38, v105
	v_lshl_add_u64 v[78:79], v[16:17], 0, 8
	v_lshl_add_u64 v[16:17], s[20:21], 0, v[30:31]
	;; [unrolled: 1-line block ×13, first 2 shown]
	v_add_u32_e32 v82, s60, v100
	v_lshl_add_u64 v[94:95], v[16:17], 0, 8
	v_lshl_add_u64 v[16:17], s[20:21], 0, v[98:99]
	;; [unrolled: 1-line block ×5, first 2 shown]
	v_ashrrev_i32_e32 v119, 31, v118
	v_add_u32_e32 v68, s60, v82
	v_lshl_add_u64 v[98:99], v[16:17], 0, 8
	v_lshl_add_u64 v[16:17], v[104:105], 0, s[58:59]
	v_ashrrev_i32_e32 v83, 31, v82
	v_ashrrev_i32_e32 v69, 31, v68
	v_lshl_add_u64 v[16:17], v[16:17], 0, v[118:119]
	v_lshlrev_b32_e32 v230, 2, v71
	v_lshlrev_b32_e32 v231, 2, v60
	;; [unrolled: 1-line block ×3, first 2 shown]
	v_lshl_add_u64 v[60:61], v[104:105], 0, v[68:69]
	v_lshl_add_u64 v[70:71], v[104:105], 0, v[82:83]
	;; [unrolled: 1-line block ×83, first 2 shown]
                                        ; implicit-def: $vgpr16
                                        ; implicit-def: $vgpr16
	;; [unrolled: 1-line block ×3, first 2 shown]
	s_add_u32 s12, s13, s58
	ds_read_b128 v[16:19], v223
	s_addc_u32 s4, s4, s59
	v_lshlrev_b32_e32 v228, 2, v65
	v_add_u32_e32 v62, s56, v64
	v_mov_b32_e32 v65, v41
	s_add_u32 s12, s18, s12
	v_lshlrev_b32_e32 v227, 2, v67
	v_ashrrev_i32_e32 v63, 31, v62
	v_lshlrev_b32_e32 v229, 2, v66
	v_lshl_add_u64 v[66:67], s[56:57], 0, v[64:65]
	v_lshlrev_b32_e32 v64, 1, v64
	s_addc_u32 s13, s19, s4
	v_and_b32_e32 v233, 28, v224
	s_mov_b32 s23, s27
	s_mul_i32 s50, s60, s26
	s_mov_b32 s51, s27
	s_mul_i32 s52, s42, s60
	s_mov_b32 s53, s27
	s_mov_b32 s55, s27
	v_lshl_add_u64 v[60:61], s[64:65], 0, v[60:61]
	v_lshl_add_u64 v[62:63], v[62:63], 1, s[68:69]
	;; [unrolled: 1-line block ×26, first 2 shown]
	s_movk_i32 s4, 0x1000
	s_mov_b32 s20, 0x3f200000
	s_mov_b32 s21, 0x3fb8aa3b
	;; [unrolled: 1-line block ×4, first 2 shown]
	s_brev_b32 s43, -2
	s_mov_b32 s56, 0x10001
	v_mov_b32_e32 v58, v41
	v_mov_b32_e32 v59, v41
	;; [unrolled: 1-line block ×4, first 2 shown]
	v_or_b32_e32 v41, 16, v40
	v_and_b32_e32 v234, 4, v218
	v_or_b32_e32 v235, 1, v233
	v_or_b32_e32 v236, 2, v233
	;; [unrolled: 1-line block ×3, first 2 shown]
	v_mov_b32_e32 v29, 0xfeffffff
	v_mov_b32_e32 v238, 0x3ca908c9
	;; [unrolled: 1-line block ×5, first 2 shown]
.LBB22_17:                              ; =>This Inner Loop Header: Depth=1
	v_lshl_add_u64 v[20:21], v[118:119], 0, s[50:51]
	global_load_dwordx2 v[30:31], v[20:21], off
	global_load_dwordx2 v[34:35], v[20:21], off offset:24
	global_load_dwordx2 v[38:39], v[20:21], off offset:48
	v_lshl_add_u64 v[22:23], v[104:105], 0, s[50:51]
	global_load_dword v27, v[22:23], off offset:8
	s_waitcnt vmcnt(3)
	v_ashrrev_i32_e32 v25, v40, v31
	v_lshlrev_b32_e32 v26, 4, v25
	v_lshlrev_b32_e32 v32, 11, v25
	;; [unrolled: 1-line block ×4, first 2 shown]
	s_waitcnt vmcnt(0)
	v_and_b32_e32 v24, 0xf0f0f0f, v27
	v_and_b32_e32 v33, 0x100000, v33
	;; [unrolled: 1-line block ×5, first 2 shown]
	v_or3_b32 v24, v25, v24, v33
	v_or3_b32 v26, v24, v26, v32
	v_cvt_f32_f16_e32 v24, v30
	v_cvt_f32_f16_sdwa v25, v30 dst_sel:DWORD dst_unused:UNUSED_PAD src0_sel:WORD_1
	v_ashrrev_i32_e32 v30, v41, v31
	v_lshrrev_b32_e32 v27, 4, v27
	v_lshlrev_b32_e32 v31, 4, v30
	v_lshlrev_b32_e32 v32, 11, v30
	;; [unrolled: 1-line block ×4, first 2 shown]
	v_and_b32_e32 v27, 0xf0f0f0f, v27
	v_and_b32_e32 v33, 0x100000, v33
	;; [unrolled: 1-line block ×3, first 2 shown]
	v_or3_b32 v27, v30, v27, v33
	global_load_dword v30, v[22:23], off offset:32
	v_and_b32_e32 v31, 16, v31
	v_and_b32_e32 v32, 0x1000, v32
	v_or3_b32 v27, v27, v31, v32
	v_ashrrev_i32_e32 v32, v40, v35
	v_lshlrev_b32_e32 v33, 4, v32
	v_lshlrev_b32_e32 v36, 11, v32
	;; [unrolled: 1-line block ×4, first 2 shown]
	v_and_b32_e32 v37, 0x100000, v37
	v_and_b32_e32 v32, 0x10000000, v32
	;; [unrolled: 1-line block ×4, first 2 shown]
	global_load_dwordx2 v[20:21], v[20:21], off offset:72
	s_waitcnt vmcnt(1)
	v_and_b32_e32 v31, 0xf0f0f0f, v30
	v_or3_b32 v31, v32, v31, v37
	v_or3_b32 v33, v31, v33, v36
	v_cvt_f32_f16_e32 v31, v34
	v_cvt_f32_f16_sdwa v32, v34 dst_sel:DWORD dst_unused:UNUSED_PAD src0_sel:WORD_1
	v_ashrrev_i32_e32 v34, v41, v35
	v_lshrrev_b32_e32 v30, 4, v30
	v_lshlrev_b32_e32 v35, 4, v34
	v_lshlrev_b32_e32 v36, 11, v34
	;; [unrolled: 1-line block ×4, first 2 shown]
	v_and_b32_e32 v30, 0xf0f0f0f, v30
	v_and_b32_e32 v37, 0x100000, v37
	;; [unrolled: 1-line block ×5, first 2 shown]
	v_or3_b32 v30, v34, v30, v37
	v_or3_b32 v34, v30, v35, v36
	global_load_dword v30, v[22:23], off offset:56
	v_ashrrev_i32_e32 v36, v40, v39
	v_lshlrev_b32_e32 v37, 4, v36
	v_lshlrev_b32_e32 v212, 11, v36
	;; [unrolled: 1-line block ×4, first 2 shown]
	v_and_b32_e32 v213, 0x100000, v213
	v_and_b32_e32 v36, 0x10000000, v36
	;; [unrolled: 1-line block ×4, first 2 shown]
	s_waitcnt vmcnt(0)
	v_and_b32_e32 v35, 0xf0f0f0f, v30
	v_or3_b32 v35, v36, v35, v213
	v_or3_b32 v37, v35, v37, v212
	v_cvt_f32_f16_e32 v35, v38
	v_cvt_f32_f16_sdwa v36, v38 dst_sel:DWORD dst_unused:UNUSED_PAD src0_sel:WORD_1
	v_ashrrev_i32_e32 v38, v41, v39
	v_lshrrev_b32_e32 v30, 4, v30
	v_lshlrev_b32_e32 v39, 4, v38
	v_lshlrev_b32_e32 v212, 11, v38
	;; [unrolled: 1-line block ×4, first 2 shown]
	v_and_b32_e32 v30, 0xf0f0f0f, v30
	v_and_b32_e32 v213, 0x100000, v213
	;; [unrolled: 1-line block ×5, first 2 shown]
	v_or3_b32 v30, v38, v30, v213
	v_or3_b32 v38, v30, v39, v212
	global_load_dword v30, v[22:23], off offset:80
	v_ashrrev_i32_e32 v23, v40, v21
	v_lshlrev_b32_e32 v39, 4, v23
	v_lshlrev_b32_e32 v212, 11, v23
	v_lshlrev_b32_e32 v213, 18, v23
	v_lshlrev_b32_e32 v23, 25, v23
	v_and_b32_e32 v213, 0x100000, v213
	v_and_b32_e32 v23, 0x10000000, v23
	v_and_b32_e32 v39, 16, v39
	v_and_b32_e32 v212, 0x1000, v212
	v_ashrrev_i32_e32 v21, v41, v21
	s_waitcnt vmcnt(0)
	v_and_b32_e32 v22, 0xf0f0f0f, v30
	v_or3_b32 v22, v23, v22, v213
	v_or3_b32 v39, v22, v39, v212
	v_cvt_f32_f16_e32 v22, v20
	v_cvt_f32_f16_sdwa v23, v20 dst_sel:DWORD dst_unused:UNUSED_PAD src0_sel:WORD_1
	v_lshrrev_b32_e32 v20, 4, v30
	v_lshlrev_b32_e32 v30, 4, v21
	v_lshlrev_b32_e32 v212, 11, v21
	;; [unrolled: 1-line block ×4, first 2 shown]
	v_and_b32_e32 v20, 0xf0f0f0f, v20
	v_and_b32_e32 v213, 0x100000, v213
	;; [unrolled: 1-line block ×3, first 2 shown]
	v_or3_b32 v20, v21, v20, v213
	v_mov_b32_e32 v21, 0
	v_mov_b32_e32 v213, 0
	v_dot4c_i32_i8_e32 v21, v26, v42
	v_dot4c_i32_i8_e32 v213, v27, v43
	v_and_b32_e32 v30, 16, v30
	v_and_b32_e32 v212, 0x1000, v212
	v_cvt_f32_i32_e32 v215, v21
	v_cvt_f32_i32_e32 v214, v213
	v_or3_b32 v212, v20, v30, v212
	v_mul_f32_e32 v30, v1, v25
	v_mul_f32_e32 v20, v0, v24
	;; [unrolled: 1-line block ×3, first 2 shown]
	v_pk_fma_f32 v[20:21], v[20:21], v[214:215], v[30:31] op_sel_hi:[0,1,0]
	v_add_f32_e32 v21, 0, v21
	v_add_f32_e32 v213, v20, v21
	v_mov_b32_e32 v21, 0
	v_mov_b32_e32 v214, 0
	v_dot4c_i32_i8_e32 v21, v33, v44
	v_dot4c_i32_i8_e32 v214, v34, v45
	v_mul_f32_e32 v30, v3, v32
	v_mul_f32_e32 v20, v2, v31
	v_cvt_f32_i32_e32 v215, v21
	v_cvt_f32_i32_e32 v214, v214
	v_mul_f32_e32 v30, 0x3e000000, v30
	v_pk_fma_f32 v[20:21], v[20:21], v[214:215], v[30:31] op_sel_hi:[0,1,0]
	v_add_f32_e32 v21, v213, v21
	v_add_f32_e32 v213, v20, v21
	v_mov_b32_e32 v21, 0
	v_mov_b32_e32 v214, 0
	v_dot4c_i32_i8_e32 v21, v37, v46
	v_dot4c_i32_i8_e32 v214, v38, v47
	v_mul_f32_e32 v30, v5, v36
	v_mul_f32_e32 v20, v4, v35
	v_cvt_f32_i32_e32 v215, v21
	v_cvt_f32_i32_e32 v214, v214
	v_mul_f32_e32 v30, 0x3e000000, v30
	;; [unrolled: 12-line block ×3, first 2 shown]
	v_pk_fma_f32 v[20:21], v[20:21], v[214:215], v[30:31] op_sel_hi:[0,1,0]
	v_add_f32_e32 v21, v213, v21
	v_add_f32_e32 v20, v20, v21
	ds_bpermute_b32 v21, v227, v20
	s_waitcnt lgkmcnt(0)
	v_add_f32_e32 v20, v20, v21
	ds_bpermute_b32 v21, v228, v20
	s_waitcnt lgkmcnt(0)
	v_add_f32_e32 v20, v20, v21
	v_cmp_nlt_f32_e64 s[12:13], |v20|, s20
                                        ; implicit-def: $vgpr21
	s_and_saveexec_b64 s[14:15], s[12:13]
	s_xor_b64 s[12:13], exec, s[14:15]
	s_cbranch_execz .LBB22_19
; %bb.18:                               ;   in Loop: Header=BB22_17 Depth=1
	v_add_f32_e64 v21, |v20|, |v20|
	v_mul_f32_e32 v30, 0x3fb8aa3b, v21
	v_rndne_f32_e32 v213, v30
	v_sub_f32_e32 v214, v30, v213
	v_fma_f32 v30, v21, s21, -v30
	v_fmac_f32_e32 v30, 0x32a5705f, v21
	v_add_f32_e32 v30, v214, v30
	v_cvt_i32_f32_e32 v213, v213
	v_exp_f32_e32 v30, v30
	v_cmp_ngt_f32_e32 vcc, s27, v21
	v_ldexp_f32 v30, v30, v213
	s_nop 0
	v_cndmask_b32_e32 v30, 0, v30, vcc
	v_cmp_nlt_f32_e32 vcc, s38, v21
	s_nop 1
	v_cndmask_b32_e32 v21, v239, v30, vcc
	v_add_f32_e32 v21, 1.0, v21
	v_rcp_f32_e32 v21, v21
	s_nop 0
	v_fma_f32 v21, v21, -2.0, 1.0
.LBB22_19:                              ;   in Loop: Header=BB22_17 Depth=1
	s_andn2_saveexec_b64 s[12:13], s[12:13]
; %bb.20:                               ;   in Loop: Header=BB22_17 Depth=1
	v_mul_f32_e32 v21, v20, v20
	v_fmamk_f32 v30, v21, 0xbbbac73d, v238
	v_fmaak_f32 v30, v21, v30, 0xbd5c1c4e
	v_fmaak_f32 v30, v21, v30, 0x3e088382
	;; [unrolled: 1-line block ×3, first 2 shown]
	v_mul_f32_e64 v30, |v20|, v30
	v_fma_f32 v21, v21, v30, |v20|
; %bb.21:                               ;   in Loop: Header=BB22_17 Depth=1
	s_or_b64 exec, exec, s[12:13]
	v_bfi_b32 v20, s43, v21, v20
	v_mul_f32_e32 v30, s39, v20
	v_cndmask_b32_e64 v20, 0, 1, s[44:45]
	v_cmp_ne_u32_e64 s[12:13], 1, v20
	s_andn2_b64 vcc, exec, s[44:45]
	v_lshl_add_u64 v[20:21], v[64:65], 0, s[40:41]
	s_cbranch_vccnz .LBB22_23
; %bb.22:                               ;   in Loop: Header=BB22_17 Depth=1
	global_load_ushort v213, v[20:21], off
	s_waitcnt vmcnt(0)
	v_fma_mix_f32 v30, v225, v213, v30 op_sel_hi:[0,1,0]
.LBB22_23:                              ;   in Loop: Header=BB22_17 Depth=1
	v_mov_b32_e32 v213, 0
	v_dot4c_i32_i8_e32 v213, v26, v50
	v_mov_b32_e32 v26, 0
	v_dot4c_i32_i8_e32 v26, v27, v51
	v_mul_f32_e32 v25, v9, v25
	v_cvt_f32_i32_e32 v27, v213
	v_mul_f32_e32 v24, v8, v24
	v_cvt_f32_i32_e32 v26, v26
	v_mul_f32_e32 v214, 0x3e000000, v25
	v_mul_f32_e32 v23, v15, v23
	;; [unrolled: 1-line block ×3, first 2 shown]
	v_pk_fma_f32 v[24:25], v[24:25], v[26:27], v[214:215] op_sel_hi:[0,1,0]
	v_add_f32_e32 v25, 0, v25
	v_add_f32_e32 v27, v24, v25
	v_mov_b32_e32 v24, 0
	v_mov_b32_e32 v26, 0
	v_dot4c_i32_i8_e32 v24, v33, v52
	v_dot4c_i32_i8_e32 v26, v34, v53
	s_nop 1
	v_cvt_f32_i32_e32 v25, v24
	v_cvt_f32_i32_e32 v24, v26
	v_mul_f32_e32 v26, v10, v31
	v_mul_f32_e32 v31, v11, v32
	;; [unrolled: 1-line block ×3, first 2 shown]
	v_pk_fma_f32 v[24:25], v[26:27], v[24:25], v[32:33] op_sel_hi:[0,1,0]
	v_add_f32_e32 v25, v27, v25
	v_add_f32_e32 v27, v24, v25
	v_mov_b32_e32 v24, 0
	v_mov_b32_e32 v26, 0
	v_dot4c_i32_i8_e32 v24, v37, v54
	v_dot4c_i32_i8_e32 v26, v38, v55
	v_mul_f32_e32 v31, v13, v36
	v_mul_f32_e32 v32, 0x3e000000, v31
	v_cvt_f32_i32_e32 v25, v24
	v_cvt_f32_i32_e32 v24, v26
	v_mul_f32_e32 v26, v12, v35
	v_pk_fma_f32 v[24:25], v[26:27], v[24:25], v[32:33] op_sel_hi:[0,1,0]
	v_add_f32_e32 v25, v27, v25
	v_add_f32_e32 v27, v24, v25
	v_mov_b32_e32 v24, 0
	v_mov_b32_e32 v26, 0
	v_dot4c_i32_i8_e32 v24, v39, v56
	v_dot4c_i32_i8_e32 v26, v212, v57
	s_nop 1
	v_cvt_f32_i32_e32 v25, v24
	v_cvt_f32_i32_e32 v24, v26
	v_mul_f32_e32 v26, 0x3e000000, v23
	v_pk_fma_f32 v[22:23], v[22:23], v[24:25], v[26:27] op_sel_hi:[0,1,0]
	v_add_f32_e32 v23, v27, v23
	v_add_f32_e32 v22, v22, v23
	ds_bpermute_b32 v23, v227, v22
	s_waitcnt lgkmcnt(0)
	v_add_f32_e32 v22, v22, v23
	ds_bpermute_b32 v23, v228, v22
	s_waitcnt lgkmcnt(0)
	v_add_f32_e32 v22, v22, v23
	v_cmp_nlt_f32_e64 s[14:15], |v22|, s20
                                        ; implicit-def: $vgpr23
	s_and_saveexec_b64 s[18:19], s[14:15]
	s_xor_b64 s[14:15], exec, s[18:19]
	s_cbranch_execz .LBB22_25
; %bb.24:                               ;   in Loop: Header=BB22_17 Depth=1
	v_add_f32_e64 v23, |v22|, |v22|
	v_mul_f32_e32 v24, 0x3fb8aa3b, v23
	v_rndne_f32_e32 v25, v24
	v_sub_f32_e32 v26, v24, v25
	v_fma_f32 v24, v23, s21, -v24
	v_fmac_f32_e32 v24, 0x32a5705f, v23
	v_add_f32_e32 v24, v26, v24
	v_cvt_i32_f32_e32 v25, v25
	v_exp_f32_e32 v24, v24
	v_cmp_ngt_f32_e32 vcc, s27, v23
	v_ldexp_f32 v24, v24, v25
	s_nop 0
	v_cndmask_b32_e32 v24, 0, v24, vcc
	v_cmp_nlt_f32_e32 vcc, s38, v23
	s_nop 1
	v_cndmask_b32_e32 v23, v239, v24, vcc
	v_add_f32_e32 v23, 1.0, v23
	v_rcp_f32_e32 v23, v23
	s_nop 0
	v_fma_f32 v23, v23, -2.0, 1.0
.LBB22_25:                              ;   in Loop: Header=BB22_17 Depth=1
	s_andn2_saveexec_b64 s[14:15], s[14:15]
; %bb.26:                               ;   in Loop: Header=BB22_17 Depth=1
	v_mul_f32_e32 v23, v22, v22
	v_fmamk_f32 v24, v23, 0xbbbac73d, v238
	v_fmaak_f32 v24, v23, v24, 0xbd5c1c4e
	v_fmaak_f32 v24, v23, v24, 0x3e088382
	v_fmaak_f32 v24, v23, v24, 0xbeaaaa99
	v_mul_f32_e64 v24, |v22|, v24
	v_fma_f32 v23, v23, v24, |v22|
; %bb.27:                               ;   in Loop: Header=BB22_17 Depth=1
	s_or_b64 exec, exec, s[14:15]
	v_bfi_b32 v22, s43, v23, v22
	v_cndmask_b32_e64 v23, 0, 1, s[46:47]
	v_cmp_ne_u32_e64 s[14:15], 1, v23
	s_andn2_b64 vcc, exec, s[46:47]
	v_mul_f32_e32 v31, s39, v22
	s_cbranch_vccnz .LBB22_29
; %bb.28:                               ;   in Loop: Header=BB22_17 Depth=1
	v_lshl_add_u64 v[22:23], v[62:63], 0, s[40:41]
	global_load_ushort v22, v[22:23], off
	s_waitcnt vmcnt(0)
	v_fma_mix_f32 v31, v225, v22, v31 op_sel_hi:[0,1,0]
.LBB22_29:                              ;   in Loop: Header=BB22_17 Depth=1
	v_lshl_add_u64 v[22:23], v[100:101], 0, s[50:51]
	global_load_dwordx2 v[34:35], v[22:23], off
	global_load_dwordx2 v[38:39], v[22:23], off offset:24
	global_load_dwordx2 v[214:215], v[22:23], off offset:48
	v_lshl_add_u64 v[24:25], v[86:87], 0, s[50:51]
	global_load_dword v32, v[24:25], off offset:8
	v_mov_b32_e32 v241, 0
	global_load_dwordx2 v[22:23], v[22:23], off offset:72
	s_waitcnt vmcnt(4)
	v_ashrrev_i32_e32 v27, v40, v35
	v_lshlrev_b32_e32 v33, 4, v27
	v_lshlrev_b32_e32 v36, 11, v27
	;; [unrolled: 1-line block ×4, first 2 shown]
	s_waitcnt vmcnt(1)
	v_and_b32_e32 v26, 0xf0f0f0f, v32
	v_and_b32_e32 v37, 0x100000, v37
	v_and_b32_e32 v27, 0x10000000, v27
	v_and_b32_e32 v33, 16, v33
	v_and_b32_e32 v36, 0x1000, v36
	v_or3_b32 v26, v27, v26, v37
	v_or3_b32 v33, v26, v33, v36
	v_cvt_f32_f16_e32 v26, v34
	v_cvt_f32_f16_sdwa v27, v34 dst_sel:DWORD dst_unused:UNUSED_PAD src0_sel:WORD_1
	v_ashrrev_i32_e32 v34, v41, v35
	v_lshrrev_b32_e32 v32, 4, v32
	v_lshlrev_b32_e32 v35, 4, v34
	v_lshlrev_b32_e32 v36, 11, v34
	;; [unrolled: 1-line block ×4, first 2 shown]
	v_and_b32_e32 v32, 0xf0f0f0f, v32
	v_and_b32_e32 v37, 0x100000, v37
	;; [unrolled: 1-line block ×5, first 2 shown]
	v_or3_b32 v32, v34, v32, v37
	v_or3_b32 v34, v32, v35, v36
	global_load_dword v32, v[24:25], off offset:32
	v_ashrrev_i32_e32 v36, v40, v39
	v_lshlrev_b32_e32 v37, 4, v36
	v_lshlrev_b32_e32 v212, 11, v36
	;; [unrolled: 1-line block ×4, first 2 shown]
	v_and_b32_e32 v213, 0x100000, v213
	v_and_b32_e32 v36, 0x10000000, v36
	;; [unrolled: 1-line block ×4, first 2 shown]
	s_waitcnt vmcnt(0)
	v_and_b32_e32 v35, 0xf0f0f0f, v32
	v_or3_b32 v35, v36, v35, v213
	v_or3_b32 v37, v35, v37, v212
	v_cvt_f32_f16_e32 v35, v38
	v_cvt_f32_f16_sdwa v36, v38 dst_sel:DWORD dst_unused:UNUSED_PAD src0_sel:WORD_1
	v_ashrrev_i32_e32 v38, v41, v39
	v_lshrrev_b32_e32 v32, 4, v32
	v_lshlrev_b32_e32 v39, 4, v38
	v_lshlrev_b32_e32 v212, 11, v38
	;; [unrolled: 1-line block ×4, first 2 shown]
	v_and_b32_e32 v32, 0xf0f0f0f, v32
	v_and_b32_e32 v213, 0x100000, v213
	;; [unrolled: 1-line block ×5, first 2 shown]
	v_or3_b32 v32, v38, v32, v213
	v_or3_b32 v38, v32, v39, v212
	global_load_dword v32, v[24:25], off offset:56
	v_ashrrev_i32_e32 v212, v40, v215
	v_lshlrev_b32_e32 v213, 4, v212
	v_lshlrev_b32_e32 v216, 11, v212
	;; [unrolled: 1-line block ×4, first 2 shown]
	v_and_b32_e32 v217, 0x100000, v217
	v_and_b32_e32 v212, 0x10000000, v212
	;; [unrolled: 1-line block ×4, first 2 shown]
	v_dot4c_i32_i8_e32 v241, v38, v45
	s_waitcnt vmcnt(0)
	v_and_b32_e32 v39, 0xf0f0f0f, v32
	v_or3_b32 v39, v212, v39, v217
	v_or3_b32 v213, v39, v213, v216
	v_cvt_f32_f16_e32 v39, v214
	v_cvt_f32_f16_sdwa v212, v214 dst_sel:DWORD dst_unused:UNUSED_PAD src0_sel:WORD_1
	v_ashrrev_i32_e32 v214, v41, v215
	v_lshrrev_b32_e32 v32, 4, v32
	v_lshlrev_b32_e32 v215, 4, v214
	v_lshlrev_b32_e32 v216, 11, v214
	;; [unrolled: 1-line block ×4, first 2 shown]
	v_and_b32_e32 v32, 0xf0f0f0f, v32
	v_and_b32_e32 v217, 0x100000, v217
	;; [unrolled: 1-line block ×5, first 2 shown]
	v_or3_b32 v32, v214, v32, v217
	v_or3_b32 v214, v32, v215, v216
	global_load_dword v32, v[24:25], off offset:80
	v_ashrrev_i32_e32 v25, v40, v23
	v_lshlrev_b32_e32 v215, 4, v25
	v_lshlrev_b32_e32 v216, 11, v25
	;; [unrolled: 1-line block ×4, first 2 shown]
	v_and_b32_e32 v217, 0x100000, v217
	v_and_b32_e32 v25, 0x10000000, v25
	;; [unrolled: 1-line block ×4, first 2 shown]
	v_ashrrev_i32_e32 v23, v41, v23
	s_waitcnt vmcnt(0)
	v_and_b32_e32 v24, 0xf0f0f0f, v32
	v_or3_b32 v24, v25, v24, v217
	v_or3_b32 v25, v24, v215, v216
	v_lshrrev_b32_e32 v32, 4, v32
	v_lshlrev_b32_e32 v215, 4, v23
	v_lshlrev_b32_e32 v216, 11, v23
	;; [unrolled: 1-line block ×4, first 2 shown]
	v_and_b32_e32 v32, 0xf0f0f0f, v32
	v_and_b32_e32 v217, 0x100000, v217
	;; [unrolled: 1-line block ×5, first 2 shown]
	v_or3_b32 v23, v23, v32, v217
	v_or3_b32 v23, v23, v215, v216
	v_mov_b32_e32 v215, 0
	v_mov_b32_e32 v217, 0
	v_dot4c_i32_i8_e32 v215, v33, v42
	v_dot4c_i32_i8_e32 v217, v34, v43
	v_mul_f32_e32 v216, v1, v27
	v_mul_f32_e32 v32, v0, v26
	v_cvt_f32_i32_e32 v243, v215
	v_cvt_f32_i32_e32 v242, v217
	v_mul_f32_e32 v216, 0x3e000000, v216
	v_cvt_f32_f16_e32 v24, v22
	v_cvt_f32_f16_sdwa v22, v22 dst_sel:DWORD dst_unused:UNUSED_PAD src0_sel:WORD_1
	v_pk_fma_f32 v[216:217], v[32:33], v[242:243], v[216:217] op_sel_hi:[0,1,0]
	v_add_f32_e32 v32, 0, v217
	v_mov_b32_e32 v217, 0
	v_dot4c_i32_i8_e32 v217, v37, v44
	v_cvt_f32_i32_e32 v242, v241
	v_add_f32_e32 v215, v216, v32
	v_mul_f32_e32 v216, v3, v36
	v_cvt_f32_i32_e32 v243, v217
	v_mul_f32_e32 v32, v2, v35
	v_mul_f32_e32 v216, 0x3e000000, v216
	v_mov_b32_e32 v241, 0
	v_pk_fma_f32 v[216:217], v[32:33], v[242:243], v[216:217] op_sel_hi:[0,1,0]
	v_add_f32_e32 v32, v215, v217
	v_mov_b32_e32 v217, 0
	v_dot4c_i32_i8_e32 v217, v213, v46
	v_dot4c_i32_i8_e32 v241, v214, v47
	v_add_f32_e32 v215, v216, v32
	v_mul_f32_e32 v216, v5, v212
	v_cvt_f32_i32_e32 v243, v217
	v_cvt_f32_i32_e32 v242, v241
	v_mul_f32_e32 v32, v4, v39
	v_mul_f32_e32 v216, 0x3e000000, v216
	v_mov_b32_e32 v241, 0
	v_pk_fma_f32 v[216:217], v[32:33], v[242:243], v[216:217] op_sel_hi:[0,1,0]
	v_add_f32_e32 v32, v215, v217
	v_mov_b32_e32 v217, 0
	v_dot4c_i32_i8_e32 v217, v25, v48
	v_dot4c_i32_i8_e32 v241, v23, v49
	v_add_f32_e32 v215, v216, v32
	v_mul_f32_e32 v216, v7, v22
	v_cvt_f32_i32_e32 v243, v217
	v_cvt_f32_i32_e32 v242, v241
	v_mul_f32_e32 v32, v6, v24
	v_mul_f32_e32 v216, 0x3e000000, v216
	v_pk_fma_f32 v[216:217], v[32:33], v[242:243], v[216:217] op_sel_hi:[0,1,0]
	v_add_f32_e32 v32, v215, v217
	v_add_f32_e32 v32, v216, v32
	ds_bpermute_b32 v215, v227, v32
	s_waitcnt lgkmcnt(0)
	v_add_f32_e32 v32, v32, v215
	ds_bpermute_b32 v215, v228, v32
	s_waitcnt lgkmcnt(0)
	v_add_f32_e32 v32, v32, v215
	v_cmp_nlt_f32_e64 s[18:19], |v32|, s20
                                        ; implicit-def: $vgpr215
	s_and_saveexec_b64 s[58:59], s[18:19]
	s_xor_b64 s[18:19], exec, s[58:59]
	s_cbranch_execz .LBB22_31
; %bb.30:                               ;   in Loop: Header=BB22_17 Depth=1
	v_add_f32_e64 v215, |v32|, |v32|
	v_mul_f32_e32 v216, 0x3fb8aa3b, v215
	v_rndne_f32_e32 v217, v216
	v_sub_f32_e32 v241, v216, v217
	v_fma_f32 v216, v215, s21, -v216
	v_fmac_f32_e32 v216, 0x32a5705f, v215
	v_add_f32_e32 v216, v241, v216
	v_cvt_i32_f32_e32 v217, v217
	v_exp_f32_e32 v216, v216
	v_cmp_ngt_f32_e32 vcc, s27, v215
	v_ldexp_f32 v216, v216, v217
	s_nop 0
	v_cndmask_b32_e32 v216, 0, v216, vcc
	v_cmp_nlt_f32_e32 vcc, s38, v215
	s_nop 1
	v_cndmask_b32_e32 v215, v239, v216, vcc
	v_add_f32_e32 v215, 1.0, v215
	v_rcp_f32_e32 v215, v215
	s_nop 0
	v_fma_f32 v215, v215, -2.0, 1.0
.LBB22_31:                              ;   in Loop: Header=BB22_17 Depth=1
	s_andn2_saveexec_b64 s[18:19], s[18:19]
; %bb.32:                               ;   in Loop: Header=BB22_17 Depth=1
	v_mul_f32_e32 v215, v32, v32
	v_fmamk_f32 v216, v215, 0xbbbac73d, v238
	v_fmaak_f32 v216, v215, v216, 0xbd5c1c4e
	v_fmaak_f32 v216, v215, v216, 0x3e088382
	v_fmaak_f32 v216, v215, v216, 0xbeaaaa99
	v_mul_f32_e64 v216, |v32|, v216
	v_fma_f32 v215, v215, v216, |v32|
; %bb.33:                               ;   in Loop: Header=BB22_17 Depth=1
	s_or_b64 exec, exec, s[18:19]
	v_bfi_b32 v32, s43, v215, v32
	s_and_b64 vcc, exec, s[12:13]
	v_mul_f32_e32 v32, s39, v32
	s_cbranch_vccnz .LBB22_35
; %bb.34:                               ;   in Loop: Header=BB22_17 Depth=1
	global_load_ushort v215, v[20:21], off offset:2
	s_waitcnt vmcnt(0)
	v_fma_mix_f32 v32, v225, v215, v32 op_sel_hi:[0,1,0]
.LBB22_35:                              ;   in Loop: Header=BB22_17 Depth=1
	v_mov_b32_e32 v215, 0
	v_dot4c_i32_i8_e32 v215, v33, v50
	v_mov_b32_e32 v33, 0
	v_dot4c_i32_i8_e32 v33, v34, v51
	v_mul_f32_e32 v27, v9, v27
	v_cvt_f32_i32_e32 v217, v215
	v_mul_f32_e32 v26, v8, v26
	v_cvt_f32_i32_e32 v216, v33
	v_mul_f32_e32 v34, 0x3e000000, v27
	v_mul_f32_e32 v22, v15, v22
	;; [unrolled: 1-line block ×3, first 2 shown]
	v_pk_fma_f32 v[26:27], v[26:27], v[216:217], v[34:35] op_sel_hi:[0,1,0]
	v_add_f32_e32 v27, 0, v27
	v_add_f32_e32 v33, v26, v27
	v_mov_b32_e32 v26, 0
	v_mov_b32_e32 v34, 0
	v_dot4c_i32_i8_e32 v26, v37, v52
	v_dot4c_i32_i8_e32 v34, v38, v53
	v_mul_f32_e32 v22, 0x3e000000, v22
	s_nop 0
	v_cvt_f32_i32_e32 v27, v26
	v_cvt_f32_i32_e32 v26, v34
	v_mul_f32_e32 v34, v10, v35
	v_mul_f32_e32 v35, v11, v36
	;; [unrolled: 1-line block ×3, first 2 shown]
	v_pk_fma_f32 v[26:27], v[34:35], v[26:27], v[36:37] op_sel_hi:[0,1,0]
	v_add_f32_e32 v27, v33, v27
	v_add_f32_e32 v33, v26, v27
	v_mov_b32_e32 v26, 0
	v_mov_b32_e32 v34, 0
	v_dot4c_i32_i8_e32 v26, v213, v54
	v_dot4c_i32_i8_e32 v34, v214, v55
	v_mul_f32_e32 v35, v13, v212
	v_mul_f32_e32 v36, 0x3e000000, v35
	v_cvt_f32_i32_e32 v27, v26
	v_cvt_f32_i32_e32 v26, v34
	v_mul_f32_e32 v34, v12, v39
	v_pk_fma_f32 v[26:27], v[34:35], v[26:27], v[36:37] op_sel_hi:[0,1,0]
	v_add_f32_e32 v27, v33, v27
	v_add_f32_e32 v33, v26, v27
	v_mov_b32_e32 v26, 0
	v_dot4c_i32_i8_e32 v26, v25, v56
	v_mov_b32_e32 v25, 0
	v_dot4c_i32_i8_e32 v25, v23, v57
	s_nop 0
	v_cvt_f32_i32_e32 v27, v26
	s_nop 0
	v_cvt_f32_i32_e32 v26, v25
	v_pk_fma_f32 v[22:23], v[24:25], v[26:27], v[22:23] op_sel_hi:[0,1,0]
	v_add_f32_e32 v23, v33, v23
	v_add_f32_e32 v22, v22, v23
	ds_bpermute_b32 v23, v227, v22
	s_waitcnt lgkmcnt(0)
	v_add_f32_e32 v22, v22, v23
	ds_bpermute_b32 v23, v228, v22
	s_waitcnt lgkmcnt(0)
	v_add_f32_e32 v22, v22, v23
	v_cmp_nlt_f32_e64 s[18:19], |v22|, s20
                                        ; implicit-def: $vgpr23
	s_and_saveexec_b64 s[58:59], s[18:19]
	s_xor_b64 s[18:19], exec, s[58:59]
	s_cbranch_execz .LBB22_37
; %bb.36:                               ;   in Loop: Header=BB22_17 Depth=1
	v_add_f32_e64 v23, |v22|, |v22|
	v_mul_f32_e32 v24, 0x3fb8aa3b, v23
	v_rndne_f32_e32 v25, v24
	v_sub_f32_e32 v26, v24, v25
	v_fma_f32 v24, v23, s21, -v24
	v_fmac_f32_e32 v24, 0x32a5705f, v23
	v_add_f32_e32 v24, v26, v24
	v_cvt_i32_f32_e32 v25, v25
	v_exp_f32_e32 v24, v24
	v_cmp_ngt_f32_e32 vcc, s27, v23
	v_ldexp_f32 v24, v24, v25
	s_nop 0
	v_cndmask_b32_e32 v24, 0, v24, vcc
	v_cmp_nlt_f32_e32 vcc, s38, v23
	s_nop 1
	v_cndmask_b32_e32 v23, v239, v24, vcc
	v_add_f32_e32 v23, 1.0, v23
	v_rcp_f32_e32 v23, v23
	s_nop 0
	v_fma_f32 v23, v23, -2.0, 1.0
.LBB22_37:                              ;   in Loop: Header=BB22_17 Depth=1
	s_andn2_saveexec_b64 s[18:19], s[18:19]
; %bb.38:                               ;   in Loop: Header=BB22_17 Depth=1
	v_mul_f32_e32 v23, v22, v22
	v_fmamk_f32 v24, v23, 0xbbbac73d, v238
	v_fmaak_f32 v24, v23, v24, 0xbd5c1c4e
	v_fmaak_f32 v24, v23, v24, 0x3e088382
	;; [unrolled: 1-line block ×3, first 2 shown]
	v_mul_f32_e64 v24, |v22|, v24
	v_fma_f32 v23, v23, v24, |v22|
; %bb.39:                               ;   in Loop: Header=BB22_17 Depth=1
	s_or_b64 exec, exec, s[18:19]
	v_bfi_b32 v22, s43, v23, v22
	v_mul_f32_e32 v33, s39, v22
	s_and_b64 vcc, exec, s[14:15]
	v_lshl_add_u64 v[22:23], v[66:67], 0, s[40:41]
	s_cbranch_vccnz .LBB22_41
; %bb.40:                               ;   in Loop: Header=BB22_17 Depth=1
	global_load_ushort v24, v[22:23], off offset:2
	s_waitcnt vmcnt(0)
	v_fma_mix_f32 v33, v225, v24, v33 op_sel_hi:[0,1,0]
.LBB22_41:                              ;   in Loop: Header=BB22_17 Depth=1
	v_lshl_add_u64 v[24:25], v[82:83], 0, s[50:51]
	global_load_dwordx2 v[38:39], v[24:25], off
	global_load_dwordx2 v[214:215], v[24:25], off offset:24
	global_load_dwordx2 v[242:243], v[24:25], off offset:48
	v_lshl_add_u64 v[26:27], v[70:71], 0, s[50:51]
	global_load_dword v34, v[26:27], off offset:8
	s_waitcnt vmcnt(3)
	v_ashrrev_i32_e32 v36, v40, v39
	v_lshlrev_b32_e32 v37, 4, v36
	v_lshlrev_b32_e32 v212, 11, v36
	;; [unrolled: 1-line block ×4, first 2 shown]
	s_waitcnt vmcnt(0)
	v_and_b32_e32 v35, 0xf0f0f0f, v34
	v_and_b32_e32 v213, 0x100000, v213
	v_and_b32_e32 v36, 0x10000000, v36
	v_and_b32_e32 v37, 16, v37
	v_and_b32_e32 v212, 0x1000, v212
	v_or3_b32 v35, v36, v35, v213
	v_or3_b32 v37, v35, v37, v212
	v_cvt_f32_f16_e32 v35, v38
	v_cvt_f32_f16_sdwa v36, v38 dst_sel:DWORD dst_unused:UNUSED_PAD src0_sel:WORD_1
	v_ashrrev_i32_e32 v38, v41, v39
	v_lshrrev_b32_e32 v34, 4, v34
	v_lshlrev_b32_e32 v39, 4, v38
	v_lshlrev_b32_e32 v212, 11, v38
	;; [unrolled: 1-line block ×4, first 2 shown]
	v_and_b32_e32 v34, 0xf0f0f0f, v34
	v_and_b32_e32 v213, 0x100000, v213
	v_and_b32_e32 v38, 0x10000000, v38
	v_and_b32_e32 v39, 16, v39
	v_and_b32_e32 v212, 0x1000, v212
	v_or3_b32 v34, v38, v34, v213
	v_or3_b32 v38, v34, v39, v212
	global_load_dword v34, v[26:27], off offset:32
	v_ashrrev_i32_e32 v212, v40, v215
	v_lshlrev_b32_e32 v213, 4, v212
	v_lshlrev_b32_e32 v216, 11, v212
	;; [unrolled: 1-line block ×4, first 2 shown]
	v_and_b32_e32 v217, 0x100000, v217
	v_and_b32_e32 v212, 0x10000000, v212
	;; [unrolled: 1-line block ×4, first 2 shown]
	global_load_dwordx2 v[24:25], v[24:25], off offset:72
	s_waitcnt vmcnt(1)
	v_and_b32_e32 v39, 0xf0f0f0f, v34
	v_or3_b32 v39, v212, v39, v217
	v_or3_b32 v213, v39, v213, v216
	v_cvt_f32_f16_e32 v39, v214
	v_cvt_f32_f16_sdwa v212, v214 dst_sel:DWORD dst_unused:UNUSED_PAD src0_sel:WORD_1
	v_ashrrev_i32_e32 v214, v41, v215
	v_lshrrev_b32_e32 v34, 4, v34
	v_lshlrev_b32_e32 v215, 4, v214
	v_lshlrev_b32_e32 v216, 11, v214
	;; [unrolled: 1-line block ×4, first 2 shown]
	v_and_b32_e32 v34, 0xf0f0f0f, v34
	v_and_b32_e32 v217, 0x100000, v217
	;; [unrolled: 1-line block ×5, first 2 shown]
	v_or3_b32 v34, v214, v34, v217
	v_or3_b32 v214, v34, v215, v216
	global_load_dword v34, v[26:27], off offset:56
	v_ashrrev_i32_e32 v216, v40, v243
	v_lshlrev_b32_e32 v217, 4, v216
	v_lshlrev_b32_e32 v241, 11, v216
	;; [unrolled: 1-line block ×4, first 2 shown]
	v_and_b32_e32 v244, 0x100000, v244
	v_and_b32_e32 v216, 0x10000000, v216
	;; [unrolled: 1-line block ×4, first 2 shown]
	s_waitcnt vmcnt(0)
	v_and_b32_e32 v215, 0xf0f0f0f, v34
	v_or3_b32 v215, v216, v215, v244
	v_or3_b32 v217, v215, v217, v241
	v_ashrrev_i32_e32 v241, v41, v243
	v_cvt_f32_f16_e32 v215, v242
	v_cvt_f32_f16_sdwa v216, v242 dst_sel:DWORD dst_unused:UNUSED_PAD src0_sel:WORD_1
	v_lshrrev_b32_e32 v34, 4, v34
	v_lshlrev_b32_e32 v242, 4, v241
	v_lshlrev_b32_e32 v243, 11, v241
	;; [unrolled: 1-line block ×4, first 2 shown]
	v_and_b32_e32 v34, 0xf0f0f0f, v34
	v_and_b32_e32 v244, 0x100000, v244
	v_and_b32_e32 v241, 0x10000000, v241
	v_and_b32_e32 v242, 16, v242
	v_and_b32_e32 v243, 0x1000, v243
	v_or3_b32 v34, v241, v34, v244
	v_or3_b32 v241, v34, v242, v243
	global_load_dword v34, v[26:27], off offset:80
	v_ashrrev_i32_e32 v27, v40, v25
	v_lshlrev_b32_e32 v242, 4, v27
	v_lshlrev_b32_e32 v243, 11, v27
	;; [unrolled: 1-line block ×4, first 2 shown]
	v_and_b32_e32 v244, 0x100000, v244
	v_and_b32_e32 v27, 0x10000000, v27
	;; [unrolled: 1-line block ×4, first 2 shown]
	v_ashrrev_i32_e32 v25, v41, v25
	s_waitcnt vmcnt(0)
	v_and_b32_e32 v26, 0xf0f0f0f, v34
	v_or3_b32 v26, v27, v26, v244
	v_or3_b32 v27, v26, v242, v243
	v_lshrrev_b32_e32 v34, 4, v34
	v_lshlrev_b32_e32 v242, 4, v25
	v_lshlrev_b32_e32 v243, 11, v25
	v_lshlrev_b32_e32 v244, 18, v25
	v_lshlrev_b32_e32 v25, 25, v25
	v_and_b32_e32 v34, 0xf0f0f0f, v34
	v_and_b32_e32 v244, 0x100000, v244
	;; [unrolled: 1-line block ×5, first 2 shown]
	v_or3_b32 v25, v25, v34, v244
	v_or3_b32 v25, v25, v242, v243
	v_mov_b32_e32 v243, 0
	v_mov_b32_e32 v244, 0
	v_dot4c_i32_i8_e32 v243, v37, v42
	v_dot4c_i32_i8_e32 v244, v38, v43
	v_mul_f32_e32 v242, v1, v36
	v_mul_f32_e32 v34, v0, v35
	v_cvt_f32_i32_e32 v245, v243
	v_cvt_f32_i32_e32 v244, v244
	v_mul_f32_e32 v242, 0x3e000000, v242
	v_cvt_f32_f16_e32 v26, v24
	v_cvt_f32_f16_sdwa v24, v24 dst_sel:DWORD dst_unused:UNUSED_PAD src0_sel:WORD_1
	v_pk_fma_f32 v[242:243], v[34:35], v[244:245], v[242:243] op_sel_hi:[0,1,0]
	v_add_f32_e32 v34, 0, v243
	v_mov_b32_e32 v243, 0
	v_mov_b32_e32 v244, 0
	v_dot4c_i32_i8_e32 v243, v213, v44
	v_dot4c_i32_i8_e32 v244, v214, v45
	v_add_f32_e32 v246, v242, v34
	v_mul_f32_e32 v242, v3, v212
	v_cvt_f32_i32_e32 v245, v243
	v_cvt_f32_i32_e32 v244, v244
	v_mul_f32_e32 v34, v2, v39
	v_mul_f32_e32 v242, 0x3e000000, v242
	v_pk_fma_f32 v[242:243], v[34:35], v[244:245], v[242:243] op_sel_hi:[0,1,0]
	v_add_f32_e32 v34, v246, v243
	v_mov_b32_e32 v243, 0
	v_mov_b32_e32 v244, 0
	v_dot4c_i32_i8_e32 v243, v217, v46
	v_dot4c_i32_i8_e32 v244, v241, v47
	v_add_f32_e32 v246, v242, v34
	v_mul_f32_e32 v242, v5, v216
	v_cvt_f32_i32_e32 v245, v243
	v_cvt_f32_i32_e32 v244, v244
	v_mul_f32_e32 v34, v4, v215
	v_mul_f32_e32 v242, 0x3e000000, v242
	;; [unrolled: 12-line block ×3, first 2 shown]
	v_pk_fma_f32 v[242:243], v[34:35], v[244:245], v[242:243] op_sel_hi:[0,1,0]
	v_add_f32_e32 v34, v246, v243
	v_add_f32_e32 v34, v242, v34
	ds_bpermute_b32 v242, v227, v34
	s_waitcnt lgkmcnt(0)
	v_add_f32_e32 v34, v34, v242
	ds_bpermute_b32 v242, v228, v34
	s_waitcnt lgkmcnt(0)
	v_add_f32_e32 v34, v34, v242
	v_cmp_nlt_f32_e64 s[18:19], |v34|, s20
                                        ; implicit-def: $vgpr242
	s_and_saveexec_b64 s[58:59], s[18:19]
	s_xor_b64 s[18:19], exec, s[58:59]
	s_cbranch_execz .LBB22_43
; %bb.42:                               ;   in Loop: Header=BB22_17 Depth=1
	v_add_f32_e64 v242, |v34|, |v34|
	v_mul_f32_e32 v243, 0x3fb8aa3b, v242
	v_rndne_f32_e32 v244, v243
	v_sub_f32_e32 v245, v243, v244
	v_fma_f32 v243, v242, s21, -v243
	v_fmac_f32_e32 v243, 0x32a5705f, v242
	v_add_f32_e32 v243, v245, v243
	v_cvt_i32_f32_e32 v244, v244
	v_exp_f32_e32 v243, v243
	v_cmp_ngt_f32_e32 vcc, s27, v242
	v_ldexp_f32 v243, v243, v244
	s_nop 0
	v_cndmask_b32_e32 v243, 0, v243, vcc
	v_cmp_nlt_f32_e32 vcc, s38, v242
	s_nop 1
	v_cndmask_b32_e32 v242, v239, v243, vcc
	v_add_f32_e32 v242, 1.0, v242
	v_rcp_f32_e32 v242, v242
	s_nop 0
	v_fma_f32 v242, v242, -2.0, 1.0
.LBB22_43:                              ;   in Loop: Header=BB22_17 Depth=1
	s_andn2_saveexec_b64 s[18:19], s[18:19]
; %bb.44:                               ;   in Loop: Header=BB22_17 Depth=1
	v_mul_f32_e32 v242, v34, v34
	v_fmamk_f32 v243, v242, 0xbbbac73d, v238
	v_fmaak_f32 v243, v242, v243, 0xbd5c1c4e
	v_fmaak_f32 v243, v242, v243, 0x3e088382
	;; [unrolled: 1-line block ×3, first 2 shown]
	v_mul_f32_e64 v243, |v34|, v243
	v_fma_f32 v242, v242, v243, |v34|
; %bb.45:                               ;   in Loop: Header=BB22_17 Depth=1
	s_or_b64 exec, exec, s[18:19]
	v_bfi_b32 v34, s43, v242, v34
	s_and_b64 vcc, exec, s[12:13]
	v_mul_f32_e32 v34, s39, v34
	s_cbranch_vccnz .LBB22_47
; %bb.46:                               ;   in Loop: Header=BB22_17 Depth=1
	global_load_ushort v242, v[20:21], off offset:4
	s_waitcnt vmcnt(0)
	v_fma_mix_f32 v34, v225, v242, v34 op_sel_hi:[0,1,0]
.LBB22_47:                              ;   in Loop: Header=BB22_17 Depth=1
	v_mov_b32_e32 v242, 0
	v_dot4c_i32_i8_e32 v242, v37, v50
	v_mov_b32_e32 v37, 0
	v_dot4c_i32_i8_e32 v37, v38, v51
	v_mul_f32_e32 v38, v8, v35
	v_cvt_f32_i32_e32 v243, v242
	v_mul_f32_e32 v35, v9, v36
	v_cvt_f32_i32_e32 v242, v37
	v_mul_f32_e32 v36, 0x3e000000, v35
	v_mul_f32_e32 v24, v15, v24
	;; [unrolled: 1-line block ×3, first 2 shown]
	v_pk_fma_f32 v[36:37], v[38:39], v[242:243], v[36:37] op_sel_hi:[0,1,0]
	v_add_f32_e32 v35, 0, v37
	v_add_f32_e32 v35, v36, v35
	v_mov_b32_e32 v36, 0
	v_mov_b32_e32 v38, 0
	v_dot4c_i32_i8_e32 v36, v213, v52
	v_dot4c_i32_i8_e32 v38, v214, v53
	v_mul_f32_e32 v24, 0x3e000000, v24
	s_nop 0
	v_cvt_f32_i32_e32 v37, v36
	v_cvt_f32_i32_e32 v36, v38
	v_mul_f32_e32 v38, v10, v39
	v_mul_f32_e32 v39, v11, v212
	;; [unrolled: 1-line block ×3, first 2 shown]
	v_pk_fma_f32 v[36:37], v[38:39], v[36:37], v[212:213] op_sel_hi:[0,1,0]
	v_add_f32_e32 v35, v35, v37
	v_add_f32_e32 v35, v36, v35
	v_mov_b32_e32 v36, 0
	v_mov_b32_e32 v38, 0
	v_dot4c_i32_i8_e32 v36, v217, v54
	v_dot4c_i32_i8_e32 v38, v241, v55
	v_mul_f32_e32 v39, v13, v216
	v_mul_f32_e32 v212, 0x3e000000, v39
	v_cvt_f32_i32_e32 v37, v36
	v_cvt_f32_i32_e32 v36, v38
	v_mul_f32_e32 v38, v12, v215
	v_pk_fma_f32 v[36:37], v[38:39], v[36:37], v[212:213] op_sel_hi:[0,1,0]
	v_add_f32_e32 v35, v35, v37
	v_add_f32_e32 v35, v36, v35
	v_mov_b32_e32 v36, 0
	v_dot4c_i32_i8_e32 v36, v27, v56
	v_mov_b32_e32 v27, 0
	v_dot4c_i32_i8_e32 v27, v25, v57
	s_nop 0
	v_cvt_f32_i32_e32 v37, v36
	s_nop 0
	v_cvt_f32_i32_e32 v36, v27
	v_pk_fma_f32 v[24:25], v[26:27], v[36:37], v[24:25] op_sel_hi:[0,1,0]
	v_add_f32_e32 v25, v35, v25
	v_add_f32_e32 v24, v24, v25
	ds_bpermute_b32 v25, v227, v24
	s_waitcnt lgkmcnt(0)
	v_add_f32_e32 v24, v24, v25
	ds_bpermute_b32 v25, v228, v24
	s_waitcnt lgkmcnt(0)
	v_add_f32_e32 v24, v24, v25
	v_cmp_nlt_f32_e64 s[18:19], |v24|, s20
                                        ; implicit-def: $vgpr25
	s_and_saveexec_b64 s[58:59], s[18:19]
	s_xor_b64 s[18:19], exec, s[58:59]
	s_cbranch_execz .LBB22_49
; %bb.48:                               ;   in Loop: Header=BB22_17 Depth=1
	v_add_f32_e64 v25, |v24|, |v24|
	v_mul_f32_e32 v26, 0x3fb8aa3b, v25
	v_rndne_f32_e32 v27, v26
	v_sub_f32_e32 v35, v26, v27
	v_fma_f32 v26, v25, s21, -v26
	v_fmac_f32_e32 v26, 0x32a5705f, v25
	v_add_f32_e32 v26, v35, v26
	v_cvt_i32_f32_e32 v27, v27
	v_exp_f32_e32 v26, v26
	v_cmp_ngt_f32_e32 vcc, s27, v25
	v_ldexp_f32 v26, v26, v27
	s_nop 0
	v_cndmask_b32_e32 v26, 0, v26, vcc
	v_cmp_nlt_f32_e32 vcc, s38, v25
	s_nop 1
	v_cndmask_b32_e32 v25, v239, v26, vcc
	v_add_f32_e32 v25, 1.0, v25
	v_rcp_f32_e32 v25, v25
	s_nop 0
	v_fma_f32 v25, v25, -2.0, 1.0
.LBB22_49:                              ;   in Loop: Header=BB22_17 Depth=1
	s_andn2_saveexec_b64 s[18:19], s[18:19]
; %bb.50:                               ;   in Loop: Header=BB22_17 Depth=1
	v_mul_f32_e32 v25, v24, v24
	v_fmamk_f32 v26, v25, 0xbbbac73d, v238
	v_fmaak_f32 v26, v25, v26, 0xbd5c1c4e
	v_fmaak_f32 v26, v25, v26, 0x3e088382
	;; [unrolled: 1-line block ×3, first 2 shown]
	v_mul_f32_e64 v26, |v24|, v26
	v_fma_f32 v25, v25, v26, |v24|
; %bb.51:                               ;   in Loop: Header=BB22_17 Depth=1
	s_or_b64 exec, exec, s[18:19]
	v_bfi_b32 v24, s43, v25, v24
	s_and_b64 vcc, exec, s[14:15]
	v_mul_f32_e32 v35, s39, v24
	s_cbranch_vccnz .LBB22_53
; %bb.52:                               ;   in Loop: Header=BB22_17 Depth=1
	global_load_ushort v24, v[22:23], off offset:4
	s_waitcnt vmcnt(0)
	v_fma_mix_f32 v35, v225, v24, v35 op_sel_hi:[0,1,0]
.LBB22_53:                              ;   in Loop: Header=BB22_17 Depth=1
	v_lshl_add_u64 v[24:25], v[68:69], 0, s[50:51]
	global_load_dwordx2 v[212:213], v[24:25], off
	global_load_dwordx2 v[216:217], v[24:25], off offset:24
	v_lshl_add_u64 v[26:27], v[60:61], 0, s[50:51]
	global_load_dword v39, v[26:27], off offset:8
	global_load_dword v244, v[26:27], off offset:56
	s_waitcnt vmcnt(3)
	v_ashrrev_i32_e32 v37, v40, v213
	v_lshlrev_b32_e32 v38, 4, v37
	v_lshlrev_b32_e32 v214, 11, v37
	v_lshlrev_b32_e32 v215, 18, v37
	v_lshlrev_b32_e32 v37, 25, v37
	s_waitcnt vmcnt(1)
	v_and_b32_e32 v36, 0xf0f0f0f, v39
	v_and_b32_e32 v215, 0x100000, v215
	;; [unrolled: 1-line block ×5, first 2 shown]
	v_or3_b32 v36, v37, v36, v215
	v_or3_b32 v38, v36, v38, v214
	v_cvt_f32_f16_e32 v36, v212
	v_cvt_f32_f16_sdwa v37, v212 dst_sel:DWORD dst_unused:UNUSED_PAD src0_sel:WORD_1
	v_ashrrev_i32_e32 v212, v41, v213
	v_lshrrev_b32_e32 v39, 4, v39
	v_lshlrev_b32_e32 v213, 4, v212
	v_lshlrev_b32_e32 v214, 11, v212
	;; [unrolled: 1-line block ×4, first 2 shown]
	v_and_b32_e32 v39, 0xf0f0f0f, v39
	v_and_b32_e32 v215, 0x100000, v215
	;; [unrolled: 1-line block ×3, first 2 shown]
	v_or3_b32 v39, v212, v39, v215
	global_load_dword v215, v[26:27], off offset:32
	v_and_b32_e32 v213, 16, v213
	v_and_b32_e32 v214, 0x1000, v214
	v_or3_b32 v39, v39, v213, v214
	v_ashrrev_i32_e32 v213, v40, v217
	v_lshlrev_b32_e32 v214, 4, v213
	v_lshlrev_b32_e32 v241, 11, v213
	;; [unrolled: 1-line block ×4, first 2 shown]
	v_and_b32_e32 v242, 0x100000, v242
	v_and_b32_e32 v213, 0x10000000, v213
	;; [unrolled: 1-line block ×4, first 2 shown]
	s_waitcnt vmcnt(0)
	v_and_b32_e32 v212, 0xf0f0f0f, v215
	v_or3_b32 v212, v213, v212, v242
	v_or3_b32 v214, v212, v214, v241
	v_cvt_f32_f16_e32 v212, v216
	v_cvt_f32_f16_sdwa v213, v216 dst_sel:DWORD dst_unused:UNUSED_PAD src0_sel:WORD_1
	v_ashrrev_i32_e32 v216, v41, v217
	v_lshrrev_b32_e32 v215, 4, v215
	v_lshlrev_b32_e32 v217, 4, v216
	v_lshlrev_b32_e32 v241, 11, v216
	;; [unrolled: 1-line block ×4, first 2 shown]
	v_and_b32_e32 v215, 0xf0f0f0f, v215
	v_and_b32_e32 v242, 0x100000, v242
	;; [unrolled: 1-line block ×3, first 2 shown]
	v_or3_b32 v215, v216, v215, v242
	global_load_dwordx2 v[242:243], v[24:25], off offset:48
	v_and_b32_e32 v217, 16, v217
	v_and_b32_e32 v241, 0x1000, v241
	v_or3_b32 v215, v215, v217, v241
	v_and_b32_e32 v216, 0xf0f0f0f, v244
	global_load_dwordx2 v[24:25], v[24:25], off offset:72
	s_waitcnt vmcnt(1)
	v_ashrrev_i32_e32 v217, v40, v243
	v_lshlrev_b32_e32 v241, 4, v217
	v_lshlrev_b32_e32 v245, 11, v217
	v_lshlrev_b32_e32 v246, 18, v217
	v_lshlrev_b32_e32 v217, 25, v217
	v_and_b32_e32 v246, 0x100000, v246
	v_and_b32_e32 v217, 0x10000000, v217
	;; [unrolled: 1-line block ×4, first 2 shown]
	v_or3_b32 v216, v217, v216, v246
	v_ashrrev_i32_e32 v243, v41, v243
	v_or3_b32 v241, v216, v241, v245
	v_cvt_f32_f16_e32 v216, v242
	v_cvt_f32_f16_sdwa v217, v242 dst_sel:DWORD dst_unused:UNUSED_PAD src0_sel:WORD_1
	v_lshrrev_b32_e32 v242, 4, v244
	v_lshlrev_b32_e32 v244, 4, v243
	v_lshlrev_b32_e32 v245, 11, v243
	;; [unrolled: 1-line block ×4, first 2 shown]
	v_and_b32_e32 v242, 0xf0f0f0f, v242
	v_and_b32_e32 v246, 0x100000, v246
	;; [unrolled: 1-line block ×3, first 2 shown]
	v_or3_b32 v242, v243, v242, v246
	global_load_dword v243, v[26:27], off offset:80
	v_and_b32_e32 v244, 16, v244
	v_and_b32_e32 v245, 0x1000, v245
	s_waitcnt vmcnt(1)
	v_ashrrev_i32_e32 v27, v40, v25
	v_or3_b32 v242, v242, v244, v245
	v_lshlrev_b32_e32 v244, 4, v27
	v_lshlrev_b32_e32 v245, 11, v27
	;; [unrolled: 1-line block ×4, first 2 shown]
	v_and_b32_e32 v246, 0x100000, v246
	v_and_b32_e32 v27, 0x10000000, v27
	;; [unrolled: 1-line block ×4, first 2 shown]
	v_ashrrev_i32_e32 v25, v41, v25
	s_waitcnt vmcnt(0)
	v_and_b32_e32 v26, 0xf0f0f0f, v243
	v_or3_b32 v26, v27, v26, v246
	v_or3_b32 v27, v26, v244, v245
	v_lshrrev_b32_e32 v243, 4, v243
	v_lshlrev_b32_e32 v244, 4, v25
	v_lshlrev_b32_e32 v245, 11, v25
	;; [unrolled: 1-line block ×4, first 2 shown]
	v_and_b32_e32 v243, 0xf0f0f0f, v243
	v_and_b32_e32 v246, 0x100000, v246
	v_and_b32_e32 v25, 0x10000000, v25
	v_and_b32_e32 v244, 16, v244
	v_and_b32_e32 v245, 0x1000, v245
	v_or3_b32 v25, v25, v243, v246
	v_or3_b32 v25, v25, v244, v245
	v_mul_f32_e32 v245, v1, v37
	v_mov_b32_e32 v243, 0
	v_mul_f32_e32 v246, 0x3e000000, v245
	v_mov_b32_e32 v245, 0
	v_dot4c_i32_i8_e32 v243, v38, v42
	v_dot4c_i32_i8_e32 v245, v39, v43
	v_mul_f32_e32 v244, v0, v36
	v_cvt_f32_f16_e32 v26, v24
	v_cvt_f32_i32_e32 v249, v243
	v_cvt_f32_i32_e32 v248, v245
	v_cvt_f32_f16_sdwa v24, v24 dst_sel:DWORD dst_unused:UNUSED_PAD src0_sel:WORD_1
	v_pk_fma_f32 v[244:245], v[244:245], v[248:249], v[246:247] op_sel_hi:[0,1,0]
	v_add_f32_e32 v243, 0, v245
	v_mov_b32_e32 v245, 0
	v_mov_b32_e32 v247, 0
	v_dot4c_i32_i8_e32 v245, v214, v44
	v_dot4c_i32_i8_e32 v247, v215, v45
	v_mul_f32_e32 v246, v3, v213
	v_add_f32_e32 v243, v244, v243
	v_cvt_f32_i32_e32 v249, v245
	v_cvt_f32_i32_e32 v248, v247
	v_mul_f32_e32 v244, v2, v212
	v_mul_f32_e32 v246, 0x3e000000, v246
	v_pk_fma_f32 v[244:245], v[244:245], v[248:249], v[246:247] op_sel_hi:[0,1,0]
	v_add_f32_e32 v243, v243, v245
	v_mov_b32_e32 v245, 0
	v_mov_b32_e32 v247, 0
	v_dot4c_i32_i8_e32 v245, v241, v46
	v_dot4c_i32_i8_e32 v247, v242, v47
	v_mul_f32_e32 v246, v5, v217
	v_add_f32_e32 v243, v244, v243
	v_cvt_f32_i32_e32 v249, v245
	v_cvt_f32_i32_e32 v248, v247
	v_mul_f32_e32 v244, v4, v216
	v_mul_f32_e32 v246, 0x3e000000, v246
	v_pk_fma_f32 v[244:245], v[244:245], v[248:249], v[246:247] op_sel_hi:[0,1,0]
	v_add_f32_e32 v243, v243, v245
	v_mov_b32_e32 v245, 0
	v_mov_b32_e32 v247, 0
	v_dot4c_i32_i8_e32 v245, v27, v48
	v_dot4c_i32_i8_e32 v247, v25, v49
	v_mul_f32_e32 v246, v7, v24
	v_add_f32_e32 v243, v244, v243
	v_cvt_f32_i32_e32 v249, v245
	v_cvt_f32_i32_e32 v248, v247
	v_mul_f32_e32 v244, v6, v26
	v_mul_f32_e32 v246, 0x3e000000, v246
	v_pk_fma_f32 v[244:245], v[244:245], v[248:249], v[246:247] op_sel_hi:[0,1,0]
	v_add_f32_e32 v243, v243, v245
	v_add_f32_e32 v243, v244, v243
	ds_bpermute_b32 v244, v227, v243
	s_waitcnt lgkmcnt(0)
	v_add_f32_e32 v243, v243, v244
	ds_bpermute_b32 v244, v228, v243
	s_waitcnt lgkmcnt(0)
	v_add_f32_e32 v243, v243, v244
	v_cmp_nlt_f32_e64 s[18:19], |v243|, s20
                                        ; implicit-def: $vgpr244
	s_and_saveexec_b64 s[58:59], s[18:19]
	s_xor_b64 s[18:19], exec, s[58:59]
	s_cbranch_execz .LBB22_55
; %bb.54:                               ;   in Loop: Header=BB22_17 Depth=1
	v_add_f32_e64 v244, |v243|, |v243|
	v_mul_f32_e32 v245, 0x3fb8aa3b, v244
	v_rndne_f32_e32 v246, v245
	v_sub_f32_e32 v247, v245, v246
	v_fma_f32 v245, v244, s21, -v245
	v_fmac_f32_e32 v245, 0x32a5705f, v244
	v_add_f32_e32 v245, v247, v245
	v_cvt_i32_f32_e32 v246, v246
	v_exp_f32_e32 v245, v245
	v_cmp_ngt_f32_e32 vcc, s27, v244
	v_ldexp_f32 v245, v245, v246
	s_nop 0
	v_cndmask_b32_e32 v245, 0, v245, vcc
	v_cmp_nlt_f32_e32 vcc, s38, v244
	s_nop 1
	v_cndmask_b32_e32 v244, v239, v245, vcc
	v_add_f32_e32 v244, 1.0, v244
	v_rcp_f32_e32 v244, v244
	s_nop 0
	v_fma_f32 v244, v244, -2.0, 1.0
.LBB22_55:                              ;   in Loop: Header=BB22_17 Depth=1
	s_andn2_saveexec_b64 s[18:19], s[18:19]
; %bb.56:                               ;   in Loop: Header=BB22_17 Depth=1
	v_mul_f32_e32 v244, v243, v243
	v_fmamk_f32 v245, v244, 0xbbbac73d, v238
	v_fmaak_f32 v245, v244, v245, 0xbd5c1c4e
	v_fmaak_f32 v245, v244, v245, 0x3e088382
	;; [unrolled: 1-line block ×3, first 2 shown]
	v_mul_f32_e64 v245, |v243|, v245
	v_fma_f32 v244, v244, v245, |v243|
; %bb.57:                               ;   in Loop: Header=BB22_17 Depth=1
	s_or_b64 exec, exec, s[18:19]
	v_bfi_b32 v243, s43, v244, v243
	s_and_b64 vcc, exec, s[12:13]
	v_mul_f32_e32 v243, s39, v243
	s_cbranch_vccnz .LBB22_59
; %bb.58:                               ;   in Loop: Header=BB22_17 Depth=1
	global_load_ushort v20, v[20:21], off offset:6
	s_waitcnt vmcnt(0)
	v_fma_mix_f32 v243, v225, v20, v243 op_sel_hi:[0,1,0]
.LBB22_59:                              ;   in Loop: Header=BB22_17 Depth=1
	v_mov_b32_e32 v20, 0
	v_dot4c_i32_i8_e32 v20, v38, v50
	v_mov_b32_e32 v38, 0
	v_dot4c_i32_i8_e32 v38, v39, v51
	v_mul_f32_e32 v37, v9, v37
	v_cvt_f32_i32_e32 v21, v20
	v_mul_f32_e32 v36, v8, v36
	v_cvt_f32_i32_e32 v20, v38
	v_mul_f32_e32 v38, 0x3e000000, v37
	v_mul_f32_e32 v24, v15, v24
	;; [unrolled: 1-line block ×3, first 2 shown]
	v_pk_fma_f32 v[20:21], v[36:37], v[20:21], v[38:39] op_sel_hi:[0,1,0]
	v_add_f32_e32 v21, 0, v21
	v_add_f32_e32 v37, v20, v21
	v_mov_b32_e32 v20, 0
	v_mov_b32_e32 v36, 0
	v_dot4c_i32_i8_e32 v20, v214, v52
	v_dot4c_i32_i8_e32 v36, v215, v53
	v_mul_f32_e32 v38, v11, v213
	v_mul_f32_e32 v38, 0x3e000000, v38
	v_cvt_f32_i32_e32 v21, v20
	v_cvt_f32_i32_e32 v20, v36
	v_mul_f32_e32 v36, v10, v212
	v_mul_f32_e32 v24, 0x3e000000, v24
	v_pk_fma_f32 v[20:21], v[36:37], v[20:21], v[38:39] op_sel_hi:[0,1,0]
	v_add_f32_e32 v21, v37, v21
	v_add_f32_e32 v37, v20, v21
	v_mov_b32_e32 v20, 0
	v_mov_b32_e32 v36, 0
	v_dot4c_i32_i8_e32 v20, v241, v54
	v_dot4c_i32_i8_e32 v36, v242, v55
	v_mul_f32_e32 v38, v13, v217
	v_mul_f32_e32 v38, 0x3e000000, v38
	v_cvt_f32_i32_e32 v21, v20
	v_cvt_f32_i32_e32 v20, v36
	v_mul_f32_e32 v36, v12, v216
	v_pk_fma_f32 v[20:21], v[36:37], v[20:21], v[38:39] op_sel_hi:[0,1,0]
	v_add_f32_e32 v21, v37, v21
	v_add_f32_e32 v36, v20, v21
	v_mov_b32_e32 v20, 0
	v_dot4c_i32_i8_e32 v20, v27, v56
	v_mov_b32_e32 v27, 0
	v_dot4c_i32_i8_e32 v27, v25, v57
	s_nop 0
	v_cvt_f32_i32_e32 v21, v20
	s_nop 0
	v_cvt_f32_i32_e32 v20, v27
	v_pk_fma_f32 v[20:21], v[26:27], v[20:21], v[24:25] op_sel_hi:[0,1,0]
	v_add_f32_e32 v21, v36, v21
	v_add_f32_e32 v20, v20, v21
	ds_bpermute_b32 v21, v227, v20
	s_waitcnt lgkmcnt(0)
	v_add_f32_e32 v20, v20, v21
	ds_bpermute_b32 v21, v228, v20
	s_waitcnt lgkmcnt(0)
	v_add_f32_e32 v20, v20, v21
	v_cmp_nlt_f32_e64 s[12:13], |v20|, s20
                                        ; implicit-def: $vgpr21
	s_and_saveexec_b64 s[18:19], s[12:13]
	s_xor_b64 s[12:13], exec, s[18:19]
	s_cbranch_execz .LBB22_61
; %bb.60:                               ;   in Loop: Header=BB22_17 Depth=1
	v_add_f32_e64 v21, |v20|, |v20|
	v_mul_f32_e32 v24, 0x3fb8aa3b, v21
	v_rndne_f32_e32 v25, v24
	v_sub_f32_e32 v26, v24, v25
	v_fma_f32 v24, v21, s21, -v24
	v_fmac_f32_e32 v24, 0x32a5705f, v21
	v_add_f32_e32 v24, v26, v24
	v_cvt_i32_f32_e32 v25, v25
	v_exp_f32_e32 v24, v24
	v_cmp_ngt_f32_e32 vcc, s27, v21
	v_ldexp_f32 v24, v24, v25
	s_nop 0
	v_cndmask_b32_e32 v24, 0, v24, vcc
	v_cmp_nlt_f32_e32 vcc, s38, v21
	s_nop 1
	v_cndmask_b32_e32 v21, v239, v24, vcc
	v_add_f32_e32 v21, 1.0, v21
	v_rcp_f32_e32 v21, v21
	s_nop 0
	v_fma_f32 v21, v21, -2.0, 1.0
.LBB22_61:                              ;   in Loop: Header=BB22_17 Depth=1
	s_andn2_saveexec_b64 s[12:13], s[12:13]
; %bb.62:                               ;   in Loop: Header=BB22_17 Depth=1
	v_mul_f32_e32 v21, v20, v20
	v_fmamk_f32 v24, v21, 0xbbbac73d, v238
	v_fmaak_f32 v24, v21, v24, 0xbd5c1c4e
	v_fmaak_f32 v24, v21, v24, 0x3e088382
	v_fmaak_f32 v24, v21, v24, 0xbeaaaa99
	v_mul_f32_e64 v24, |v20|, v24
	v_fma_f32 v21, v21, v24, |v20|
; %bb.63:                               ;   in Loop: Header=BB22_17 Depth=1
	s_or_b64 exec, exec, s[12:13]
	v_bfi_b32 v20, s43, v21, v20
	s_and_b64 vcc, exec, s[14:15]
	v_mul_f32_e32 v20, s39, v20
	s_cbranch_vccnz .LBB22_65
; %bb.64:                               ;   in Loop: Header=BB22_17 Depth=1
	global_load_ushort v21, v[22:23], off offset:6
	s_waitcnt vmcnt(0)
	v_fma_mix_f32 v20, v225, v21, v20 op_sel_hi:[0,1,0]
.LBB22_65:                              ;   in Loop: Header=BB22_17 Depth=1
	v_add_f32_e32 v21, 0x40051340, v30
	v_add_f32_e32 v22, 0x40051340, v32
	v_max3_f32 v21, v29, v21, v22
	v_add_f32_e32 v22, 0x40051340, v34
	v_add_f32_e32 v23, 0x40051340, v243
	v_max3_f32 v21, v21, v22, v23
	ds_bpermute_b32 v22, v229, v21
	v_add_f32_e32 v25, 0x40051340, v31
	v_add_f32_e32 v26, 0x40051340, v33
	v_max3_f32 v25, v28, v25, v26
	v_cndmask_b32_e64 v23, v210, v30, s[16:17]
	s_waitcnt lgkmcnt(0)
	v_max_f32_e32 v22, v22, v22
	v_max_f32_e32 v21, v21, v22
	ds_bpermute_b32 v22, v230, v21
	v_cndmask_b32_e64 v23, v23, v32, s[6:7]
	v_cndmask_b32_e64 v23, v23, v34, s[8:9]
	v_add_f32_e32 v27, 0x40051340, v35
	v_cndmask_b32_e64 v23, v23, v243, s[10:11]
	s_waitcnt lgkmcnt(0)
	v_max_f32_e32 v22, v22, v22
	v_max_f32_e32 v21, v21, v22
	ds_bpermute_b32 v22, v231, v21
	v_cndmask_b32_e64 v24, v211, v31, s[16:17]
	v_cndmask_b32_e64 v24, v24, v33, s[6:7]
	;; [unrolled: 1-line block ×4, first 2 shown]
	s_waitcnt lgkmcnt(0)
	v_max_f32_e32 v22, v22, v22
	v_max_f32_e32 v212, v21, v22
	v_sub_f32_e32 v21, v29, v212
	v_mul_f32_e32 v22, 0x3fb8aa3b, v21
	v_fma_f32 v26, v21, s21, -v22
	v_rndne_f32_e32 v29, v22
	v_fmac_f32_e32 v26, 0x32a5705f, v21
	v_sub_f32_e32 v22, v22, v29
	v_add_f32_e32 v22, v22, v26
	v_exp_f32_e32 v22, v22
	v_cvt_i32_f32_e32 v26, v29
	v_add_f32_e32 v29, 0x40051340, v20
	v_max3_f32 v25, v25, v27, v29
	v_sub_f32_e32 v27, v23, v212
	v_ldexp_f32 v22, v22, v26
	v_cmp_ngt_f32_e32 vcc, s27, v21
	v_mul_f32_e32 v29, 0x3fb8aa3b, v27
	v_fma_f32 v30, v27, s21, -v29
	v_cndmask_b32_e32 v26, 0, v22, vcc
	v_rndne_f32_e32 v31, v29
	v_lshl_add_u64 v[22:23], v[74:75], 0, s[22:23]
	v_fmac_f32_e32 v30, 0x32a5705f, v27
	global_load_dword v241, v[22:23], off
	v_sub_f32_e32 v22, v29, v31
	v_add_f32_e32 v29, v22, v30
	v_lshl_add_u64 v[22:23], v[72:73], 0, s[22:23]
	ds_bpermute_b32 v30, v229, v25
	global_load_dwordx2 v[214:215], v[22:23], off offset:-4
	v_exp_f32_e32 v23, v29
	v_cvt_i32_f32_e32 v29, v31
	v_cmp_nlt_f32_e32 vcc, s38, v21
	v_lshl_add_u64 v[242:243], v[80:81], 0, s[22:23]
	s_add_i32 s26, s26, s42
	v_ldexp_f32 v21, v23, v29
	s_waitcnt lgkmcnt(0)
	v_max_f32_e32 v23, v30, v30
	v_max_f32_e32 v23, v25, v23
	ds_bpermute_b32 v25, v230, v23
	v_cndmask_b32_e32 v22, v239, v26, vcc
	v_cmp_ngt_f32_e32 vcc, s27, v27
	v_cvt_f16_f32_e32 v26, v22
	v_lshl_add_u64 v[60:61], v[60:61], 0, s[52:53]
	s_waitcnt lgkmcnt(0)
	v_max_f32_e32 v25, v25, v25
	v_max_f32_e32 v23, v23, v25
	ds_bpermute_b32 v25, v231, v23
	v_cndmask_b32_e32 v21, 0, v21, vcc
	v_cmp_nlt_f32_e32 vcc, s38, v27
	v_mul_u32_u24_e32 v26, 0x10001, v26
	v_pk_mul_f16 v245, v16, v26
	v_cndmask_b32_e32 v210, v239, v21, vcc
	v_cvt_f16_f32_e32 v21, v210
	s_waitcnt lgkmcnt(0)
	v_max_f32_e32 v20, v25, v25
	v_max_f32_e32 v213, v23, v20
	v_sub_f32_e32 v23, v28, v213
	v_mul_f32_e32 v20, 0x3fb8aa3b, v23
	ds_write_b16 v222, v21
	v_fma_f32 v21, v23, s21, -v20
	v_rndne_f32_e32 v25, v20
	v_fmac_f32_e32 v21, 0x32a5705f, v23
	v_sub_f32_e32 v20, v20, v25
	v_add_f32_e32 v20, v20, v21
	v_exp_f32_e32 v27, v20
	v_cvt_i32_f32_e32 v25, v25
	v_lshl_add_u64 v[20:21], v[78:79], 0, s[22:23]
	global_load_dword v244, v[20:21], off
	v_lshl_add_u64 v[20:21], v[76:77], 0, s[22:23]
	global_load_dwordx2 v[216:217], v[20:21], off
	v_sub_f32_e32 v20, v24, v213
	v_mul_f32_e32 v21, 0x3fb8aa3b, v20
	v_ldexp_f32 v16, v27, v25
	v_fma_f32 v24, v20, s21, -v21
	v_rndne_f32_e32 v25, v21
	v_fmac_f32_e32 v24, 0x32a5705f, v20
	v_sub_f32_e32 v21, v21, v25
	v_add_f32_e32 v21, v21, v24
	v_exp_f32_e32 v21, v21
	v_cvt_i32_f32_e32 v24, v25
	v_cmp_ngt_f32_e32 vcc, s27, v23
	v_lshl_add_u64 v[28:29], v[84:85], 0, s[22:23]
	v_pk_mul_f16 v246, v17, v26
	v_cndmask_b32_e32 v16, 0, v16, vcc
	v_cmp_nlt_f32_e32 vcc, s38, v23
	v_lshl_add_u64 v[62:63], v[62:63], 0, s[48:49]
	v_lshl_add_u64 v[64:65], v[64:65], 0, s[48:49]
	v_cndmask_b32_e32 v23, v239, v16, vcc
	v_ldexp_f32 v16, v21, v24
	v_cmp_ngt_f32_e32 vcc, s27, v20
	v_lshl_add_u64 v[66:67], v[66:67], 0, s[48:49]
	v_lshl_add_u64 v[68:69], v[68:69], 0, s[52:53]
	v_cndmask_b32_e32 v16, 0, v16, vcc
	v_cmp_nlt_f32_e32 vcc, s38, v20
	v_cvt_f16_f32_e32 v20, v23
	v_lshl_add_u64 v[70:71], v[70:71], 0, s[52:53]
	v_cndmask_b32_e32 v211, v239, v16, vcc
	v_cvt_f16_f32_e32 v16, v211
	v_pk_fma_f32 v[58:59], v[58:59], v[22:23], v[210:211]
	v_lshl_add_u64 v[72:73], v[72:73], 0, s[54:55]
	v_lshl_add_u64 v[74:75], v[74:75], 0, s[54:55]
	ds_write_b16 v222, v16 offset:256
	v_mul_u32_u24_e32 v16, 0x10001, v20
	v_pk_mul_f16 v247, v18, v16
	v_pk_mul_f16 v248, v19, v16
	ds_read_b128 v[36:39], v232
	ds_read_b128 v[24:27], v232 offset:16
	ds_read_b128 v[20:23], v232 offset:32
	;; [unrolled: 1-line block ×4, first 2 shown]
	global_load_dword v250, v[28:29], off
	s_waitcnt vmcnt(4)
	v_ashrrev_i32_e32 v241, v234, v241
	global_load_dwordx2 v[242:243], v[242:243], off
	v_and_b32_e32 v241, 0xf0f0f0f, v241
	s_waitcnt lgkmcnt(4)
	v_mul_u32_u24_sdwa v249, v36, s56 dst_sel:DWORD dst_unused:UNUSED_PAD src0_sel:WORD_0 src1_sel:DWORD
	s_waitcnt vmcnt(4)
	v_lshrrev_b32_e32 v252, v233, v215
	v_lshlrev_b32_e32 v252, 4, v252
	v_and_or_b32 v241, v252, 16, v241
	v_lshrrev_b32_e32 v252, v235, v215
	v_lshrrev_b32_e32 v253, v236, v215
	;; [unrolled: 1-line block ×3, first 2 shown]
	v_lshlrev_b32_e32 v252, 12, v252
	v_lshlrev_b32_e32 v253, 20, v253
	v_lshlrev_b32_e32 v215, 28, v215
	v_and_or_b32 v252, v252, s4, v241
	v_and_b32_e32 v253, 0x100000, v253
	v_and_b32_e32 v215, 0x10000000, v215
	v_or3_b32 v215, v253, v215, v252
	v_lshrrev_b32_e32 v252, 8, v252
	v_and_b32_e32 v241, 31, v241
	v_and_b32_e32 v252, 31, v252
	v_cvt_f16_u16_e32 v241, v241
	v_cvt_f16_u16_e32 v252, v252
	v_pack_b32_f16 v241, v241, v252
	v_and_b32_sdwa v252, v215, v240 dst_sel:DWORD dst_unused:UNUSED_PAD src0_sel:WORD_1 src1_sel:DWORD
	v_cvt_f16_u16_sdwa v215, v215 dst_sel:DWORD dst_unused:UNUSED_PAD src0_sel:BYTE_3
	v_cvt_f16_u16_e32 v252, v252
	v_mul_u32_u24_sdwa v253, v214, s56 dst_sel:DWORD dst_unused:UNUSED_PAD src0_sel:WORD_0 src1_sel:DWORD
	v_mul_u32_u24_sdwa v214, v214, s56 dst_sel:DWORD dst_unused:UNUSED_PAD src0_sel:WORD_1 src1_sel:DWORD
	v_pack_b32_f16 v215, v252, v215
	s_waitcnt lgkmcnt(0)
	v_mul_u32_u24_sdwa v251, v32, s56 dst_sel:DWORD dst_unused:UNUSED_PAD src0_sel:WORD_0 src1_sel:DWORD
	v_pk_fma_f16 v241, v241, v253, v214
	v_pk_fma_f16 v214, v215, v253, v214
	;; [unrolled: 1-line block ×6, first 2 shown]
	v_lshl_add_u64 v[214:215], v[90:91], 0, s[22:23]
	global_load_dword v248, v[214:215], off
	v_lshl_add_u64 v[214:215], v[88:89], 0, s[22:23]
	global_load_dwordx2 v[214:215], v[214:215], off
	s_waitcnt vmcnt(5)
	v_ashrrev_i32_e32 v244, v234, v244
	v_and_b32_e32 v244, 0xf0f0f0f, v244
	s_waitcnt vmcnt(4)
	v_lshrrev_b32_e32 v249, v233, v217
	v_lshlrev_b32_e32 v249, 4, v249
	v_and_or_b32 v244, v249, 16, v244
	v_lshrrev_b32_e32 v249, v235, v217
	v_lshrrev_b32_e32 v251, v236, v217
	v_lshrrev_b32_e32 v217, v237, v217
	v_lshlrev_b32_e32 v249, 12, v249
	v_lshlrev_b32_e32 v251, 20, v251
	;; [unrolled: 1-line block ×3, first 2 shown]
	v_and_or_b32 v249, v249, s4, v244
	v_and_b32_e32 v251, 0x100000, v251
	v_and_b32_e32 v217, 0x10000000, v217
	v_or3_b32 v217, v251, v217, v249
	v_lshrrev_b32_e32 v249, 8, v249
	v_and_b32_e32 v244, 31, v244
	v_and_b32_e32 v249, 31, v249
	v_cvt_f16_u16_e32 v244, v244
	v_cvt_f16_u16_e32 v249, v249
	v_pack_b32_f16 v244, v244, v249
	v_and_b32_sdwa v249, v217, v240 dst_sel:DWORD dst_unused:UNUSED_PAD src0_sel:WORD_1 src1_sel:DWORD
	v_cvt_f16_u16_sdwa v217, v217 dst_sel:DWORD dst_unused:UNUSED_PAD src0_sel:BYTE_3
	v_cvt_f16_u16_e32 v249, v249
	v_mul_u32_u24_sdwa v251, v216, s56 dst_sel:DWORD dst_unused:UNUSED_PAD src0_sel:WORD_0 src1_sel:DWORD
	v_mul_u32_u24_sdwa v216, v216, s56 dst_sel:DWORD dst_unused:UNUSED_PAD src0_sel:WORD_1 src1_sel:DWORD
	v_pack_b32_f16 v217, v249, v217
	v_mul_u32_u24_sdwa v36, v36, s56 dst_sel:DWORD dst_unused:UNUSED_PAD src0_sel:WORD_1 src1_sel:DWORD
	v_mul_u32_u24_sdwa v32, v32, s56 dst_sel:DWORD dst_unused:UNUSED_PAD src0_sel:WORD_1 src1_sel:DWORD
	v_pk_fma_f16 v244, v244, v251, v216
	v_pk_fma_f16 v216, v217, v251, v216
	;; [unrolled: 1-line block ×6, first 2 shown]
	v_lshl_add_u64 v[216:217], v[94:95], 0, s[22:23]
	global_load_dword v246, v[216:217], off
	v_lshl_add_u64 v[216:217], v[92:93], 0, s[22:23]
	global_load_dwordx2 v[216:217], v[216:217], off
	s_waitcnt vmcnt(5)
	v_ashrrev_i32_e32 v249, v234, v250
	v_and_b32_e32 v249, 0xf0f0f0f, v249
	s_waitcnt vmcnt(4)
	v_lshrrev_b32_e32 v250, v233, v243
	v_lshlrev_b32_e32 v250, 4, v250
	v_and_or_b32 v249, v250, 16, v249
	v_lshrrev_b32_e32 v250, v235, v243
	v_lshrrev_b32_e32 v251, v236, v243
	v_lshrrev_b32_e32 v243, v237, v243
	v_lshlrev_b32_e32 v250, 12, v250
	v_lshlrev_b32_e32 v251, 20, v251
	;; [unrolled: 1-line block ×3, first 2 shown]
	v_and_or_b32 v250, v250, s4, v249
	v_and_b32_e32 v251, 0x100000, v251
	v_and_b32_e32 v243, 0x10000000, v243
	v_or3_b32 v243, v251, v243, v250
	v_lshrrev_b32_e32 v250, 8, v250
	v_and_b32_e32 v249, 31, v249
	v_and_b32_e32 v250, 31, v250
	v_cvt_f16_u16_e32 v249, v249
	v_cvt_f16_u16_e32 v250, v250
	v_pack_b32_f16 v249, v249, v250
	v_and_b32_sdwa v250, v243, v240 dst_sel:DWORD dst_unused:UNUSED_PAD src0_sel:WORD_1 src1_sel:DWORD
	v_cvt_f16_u16_sdwa v243, v243 dst_sel:DWORD dst_unused:UNUSED_PAD src0_sel:BYTE_3
	v_cvt_f16_u16_e32 v250, v250
	v_mul_u32_u24_sdwa v251, v242, s56 dst_sel:DWORD dst_unused:UNUSED_PAD src0_sel:WORD_0 src1_sel:DWORD
	v_mul_u32_u24_sdwa v242, v242, s56 dst_sel:DWORD dst_unused:UNUSED_PAD src0_sel:WORD_1 src1_sel:DWORD
	v_pack_b32_f16 v243, v250, v243
	v_mul_u32_u24_sdwa v244, v37, s56 dst_sel:DWORD dst_unused:UNUSED_PAD src0_sel:WORD_0 src1_sel:DWORD
	v_pk_fma_f16 v249, v249, v251, v242
	v_pk_fma_f16 v242, v243, v251, v242
	v_mul_u32_u24_sdwa v247, v33, s56 dst_sel:DWORD dst_unused:UNUSED_PAD src0_sel:WORD_0 src1_sel:DWORD
	v_pk_fma_f16 v243, v249, v244, v245
	v_pk_fma_f16 v244, v242, v244, v36
	v_mul_u32_u24_sdwa v245, v37, s56 dst_sel:DWORD dst_unused:UNUSED_PAD src0_sel:WORD_1 src1_sel:DWORD
	v_lshl_add_u64 v[36:37], v[98:99], 0, s[22:23]
	v_pk_fma_f16 v241, v249, v247, v241
	v_pk_fma_f16 v242, v242, v247, v32
	global_load_dword v247, v[36:37], off
	v_mul_u32_u24_sdwa v36, v33, s56 dst_sel:DWORD dst_unused:UNUSED_PAD src0_sel:WORD_1 src1_sel:DWORD
	v_lshl_add_u64 v[32:33], v[96:97], 0, s[22:23]
	global_load_dwordx2 v[32:33], v[32:33], off
	s_waitcnt vmcnt(5)
	v_ashrrev_i32_e32 v37, v234, v248
	s_waitcnt vmcnt(4)
	v_lshrrev_b32_e32 v248, v233, v215
	v_and_b32_e32 v37, 0xf0f0f0f, v37
	v_lshlrev_b32_e32 v248, 4, v248
	v_and_or_b32 v37, v248, 16, v37
	v_lshrrev_b32_e32 v248, v235, v215
	v_lshrrev_b32_e32 v249, v236, v215
	;; [unrolled: 1-line block ×3, first 2 shown]
	v_lshlrev_b32_e32 v248, 12, v248
	v_lshlrev_b32_e32 v249, 20, v249
	;; [unrolled: 1-line block ×3, first 2 shown]
	v_and_or_b32 v248, v248, s4, v37
	v_and_b32_e32 v249, 0x100000, v249
	v_and_b32_e32 v215, 0x10000000, v215
	v_or3_b32 v215, v249, v215, v248
	v_lshrrev_b32_e32 v248, 8, v248
	v_and_b32_e32 v37, 31, v37
	v_and_b32_e32 v248, 31, v248
	v_cvt_f16_u16_e32 v37, v37
	v_cvt_f16_u16_e32 v248, v248
	v_pack_b32_f16 v37, v37, v248
	v_and_b32_sdwa v248, v215, v240 dst_sel:DWORD dst_unused:UNUSED_PAD src0_sel:WORD_1 src1_sel:DWORD
	v_cvt_f16_u16_sdwa v215, v215 dst_sel:DWORD dst_unused:UNUSED_PAD src0_sel:BYTE_3
	v_cvt_f16_u16_e32 v248, v248
	v_mul_u32_u24_sdwa v249, v214, s56 dst_sel:DWORD dst_unused:UNUSED_PAD src0_sel:WORD_0 src1_sel:DWORD
	v_mul_u32_u24_sdwa v214, v214, s56 dst_sel:DWORD dst_unused:UNUSED_PAD src0_sel:WORD_1 src1_sel:DWORD
	v_pack_b32_f16 v215, v248, v215
	v_pk_fma_f16 v37, v37, v249, v214
	v_pk_fma_f16 v214, v215, v249, v214
	;; [unrolled: 1-line block ×6, first 2 shown]
	v_lshl_add_u64 v[36:37], v[106:107], 0, s[22:23]
	global_load_dword v244, v[36:37], off
	v_lshl_add_u64 v[36:37], v[102:103], 0, s[22:23]
	s_waitcnt vmcnt(4)
	v_ashrrev_i32_e32 v246, v234, v246
	global_load_dwordx2 v[36:37], v[36:37], off
	s_waitcnt vmcnt(4)
	v_lshrrev_b32_e32 v248, v233, v217
	v_and_b32_e32 v246, 0xf0f0f0f, v246
	v_lshlrev_b32_e32 v248, 4, v248
	v_and_or_b32 v246, v248, 16, v246
	v_lshrrev_b32_e32 v248, v235, v217
	v_lshrrev_b32_e32 v249, v236, v217
	;; [unrolled: 1-line block ×3, first 2 shown]
	v_lshlrev_b32_e32 v248, 12, v248
	v_lshlrev_b32_e32 v249, 20, v249
	;; [unrolled: 1-line block ×3, first 2 shown]
	v_and_or_b32 v248, v248, s4, v246
	v_and_b32_e32 v249, 0x100000, v249
	v_and_b32_e32 v217, 0x10000000, v217
	v_or3_b32 v217, v249, v217, v248
	v_lshrrev_b32_e32 v248, 8, v248
	v_and_b32_e32 v246, 31, v246
	v_and_b32_e32 v248, 31, v248
	v_cvt_f16_u16_e32 v246, v246
	v_cvt_f16_u16_e32 v248, v248
	v_pack_b32_f16 v246, v246, v248
	v_and_b32_sdwa v248, v217, v240 dst_sel:DWORD dst_unused:UNUSED_PAD src0_sel:WORD_1 src1_sel:DWORD
	v_cvt_f16_u16_sdwa v217, v217 dst_sel:DWORD dst_unused:UNUSED_PAD src0_sel:BYTE_3
	v_cvt_f16_u16_e32 v248, v248
	v_mul_u32_u24_sdwa v249, v216, s56 dst_sel:DWORD dst_unused:UNUSED_PAD src0_sel:WORD_0 src1_sel:DWORD
	v_mul_u32_u24_sdwa v216, v216, s56 dst_sel:DWORD dst_unused:UNUSED_PAD src0_sel:WORD_1 src1_sel:DWORD
	v_pack_b32_f16 v217, v248, v217
	v_mul_u32_u24_sdwa v242, v38, s56 dst_sel:DWORD dst_unused:UNUSED_PAD src0_sel:WORD_0 src1_sel:DWORD
	v_mul_u32_u24_sdwa v245, v34, s56 dst_sel:DWORD dst_unused:UNUSED_PAD src0_sel:WORD_0 src1_sel:DWORD
	v_pk_fma_f16 v246, v246, v249, v216
	v_pk_fma_f16 v216, v217, v249, v216
	;; [unrolled: 1-line block ×5, first 2 shown]
	v_lshl_add_u64 v[214:215], v[110:111], 0, s[22:23]
	global_load_dword v243, v[214:215], off
	v_lshl_add_u64 v[214:215], v[108:109], 0, s[22:23]
	v_pk_fma_f16 v241, v246, v245, v241
	global_load_dwordx2 v[214:215], v[214:215], off
	s_waitcnt vmcnt(5)
	v_ashrrev_i32_e32 v245, v234, v247
	v_and_b32_e32 v245, 0xf0f0f0f, v245
	v_mul_u32_u24_sdwa v38, v38, s56 dst_sel:DWORD dst_unused:UNUSED_PAD src0_sel:WORD_1 src1_sel:DWORD
	s_waitcnt vmcnt(4)
	v_lshrrev_b32_e32 v246, v233, v33
	v_lshlrev_b32_e32 v246, 4, v246
	v_and_or_b32 v245, v246, 16, v245
	v_lshrrev_b32_e32 v246, v235, v33
	v_lshrrev_b32_e32 v247, v236, v33
	;; [unrolled: 1-line block ×3, first 2 shown]
	v_lshlrev_b32_e32 v246, 12, v246
	v_lshlrev_b32_e32 v247, 20, v247
	;; [unrolled: 1-line block ×3, first 2 shown]
	v_and_or_b32 v246, v246, s4, v245
	v_and_b32_e32 v247, 0x100000, v247
	v_and_b32_e32 v33, 0x10000000, v33
	v_or3_b32 v33, v247, v33, v246
	v_lshrrev_b32_e32 v246, 8, v246
	v_and_b32_e32 v245, 31, v245
	v_and_b32_e32 v246, 31, v246
	v_cvt_f16_u16_e32 v245, v245
	v_cvt_f16_u16_e32 v246, v246
	v_pack_b32_f16 v245, v245, v246
	v_and_b32_sdwa v246, v33, v240 dst_sel:DWORD dst_unused:UNUSED_PAD src0_sel:WORD_1 src1_sel:DWORD
	v_cvt_f16_u16_sdwa v33, v33 dst_sel:DWORD dst_unused:UNUSED_PAD src0_sel:BYTE_3
	v_cvt_f16_u16_e32 v246, v246
	v_mul_u32_u24_sdwa v247, v32, s56 dst_sel:DWORD dst_unused:UNUSED_PAD src0_sel:WORD_0 src1_sel:DWORD
	v_mul_u32_u24_sdwa v32, v32, s56 dst_sel:DWORD dst_unused:UNUSED_PAD src0_sel:WORD_1 src1_sel:DWORD
	v_pack_b32_f16 v33, v246, v33
	v_mul_u32_u24_sdwa v34, v34, s56 dst_sel:DWORD dst_unused:UNUSED_PAD src0_sel:WORD_1 src1_sel:DWORD
	v_pk_fma_f16 v245, v245, v247, v32
	v_pk_fma_f16 v32, v33, v247, v32
	;; [unrolled: 1-line block ×6, first 2 shown]
	v_lshl_add_u64 v[32:33], v[114:115], 0, s[22:23]
	global_load_dword v242, v[32:33], off
	v_lshl_add_u64 v[32:33], v[112:113], 0, s[22:23]
	global_load_dwordx2 v[32:33], v[32:33], off
	s_waitcnt vmcnt(5)
	v_ashrrev_i32_e32 v244, v234, v244
	v_and_b32_e32 v244, 0xf0f0f0f, v244
	s_waitcnt vmcnt(4)
	v_lshrrev_b32_e32 v246, v233, v37
	v_lshlrev_b32_e32 v246, 4, v246
	v_and_or_b32 v244, v246, 16, v244
	v_lshrrev_b32_e32 v246, v235, v37
	v_lshrrev_b32_e32 v247, v236, v37
	;; [unrolled: 1-line block ×3, first 2 shown]
	v_lshlrev_b32_e32 v246, 12, v246
	v_lshlrev_b32_e32 v247, 20, v247
	;; [unrolled: 1-line block ×3, first 2 shown]
	v_and_or_b32 v246, v246, s4, v244
	v_and_b32_e32 v247, 0x100000, v247
	v_and_b32_e32 v37, 0x10000000, v37
	v_or3_b32 v37, v247, v37, v246
	v_lshrrev_b32_e32 v246, 8, v246
	v_and_b32_e32 v244, 31, v244
	v_and_b32_e32 v246, 31, v246
	v_cvt_f16_u16_e32 v244, v244
	v_cvt_f16_u16_e32 v246, v246
	v_pack_b32_f16 v244, v244, v246
	v_and_b32_sdwa v246, v37, v240 dst_sel:DWORD dst_unused:UNUSED_PAD src0_sel:WORD_1 src1_sel:DWORD
	v_cvt_f16_u16_sdwa v37, v37 dst_sel:DWORD dst_unused:UNUSED_PAD src0_sel:BYTE_3
	v_cvt_f16_u16_e32 v246, v246
	v_mul_u32_u24_sdwa v247, v36, s56 dst_sel:DWORD dst_unused:UNUSED_PAD src0_sel:WORD_0 src1_sel:DWORD
	v_mul_u32_u24_sdwa v36, v36, s56 dst_sel:DWORD dst_unused:UNUSED_PAD src0_sel:WORD_1 src1_sel:DWORD
	v_pack_b32_f16 v37, v246, v37
	v_mul_u32_u24_sdwa v216, v39, s56 dst_sel:DWORD dst_unused:UNUSED_PAD src0_sel:WORD_0 src1_sel:DWORD
	v_mul_u32_u24_sdwa v245, v35, s56 dst_sel:DWORD dst_unused:UNUSED_PAD src0_sel:WORD_0 src1_sel:DWORD
	v_pk_fma_f16 v244, v244, v247, v36
	v_pk_fma_f16 v36, v37, v247, v36
	;; [unrolled: 1-line block ×6, first 2 shown]
	v_lshl_add_u64 v[36:37], v[120:121], 0, s[22:23]
	v_mul_u32_u24_sdwa v245, v35, s56 dst_sel:DWORD dst_unused:UNUSED_PAD src0_sel:WORD_1 src1_sel:DWORD
	v_lshl_add_u64 v[34:35], v[116:117], 0, s[22:23]
	global_load_dword v244, v[36:37], off
	s_waitcnt vmcnt(4)
	v_ashrrev_i32_e32 v36, v234, v243
	global_load_dwordx2 v[34:35], v[34:35], off
	s_waitcnt vmcnt(4)
	v_lshrrev_b32_e32 v37, v233, v215
	v_and_b32_e32 v36, 0xf0f0f0f, v36
	v_lshlrev_b32_e32 v37, 4, v37
	v_and_or_b32 v36, v37, 16, v36
	v_lshrrev_b32_e32 v37, v235, v215
	v_lshrrev_b32_e32 v243, v236, v215
	;; [unrolled: 1-line block ×3, first 2 shown]
	v_lshlrev_b32_e32 v37, 12, v37
	v_lshlrev_b32_e32 v243, 20, v243
	;; [unrolled: 1-line block ×3, first 2 shown]
	v_and_or_b32 v37, v37, s4, v36
	v_and_b32_e32 v243, 0x100000, v243
	v_and_b32_e32 v215, 0x10000000, v215
	v_or3_b32 v215, v243, v215, v37
	v_lshrrev_b32_e32 v37, 8, v37
	v_and_b32_e32 v36, 31, v36
	v_and_b32_e32 v37, 31, v37
	v_cvt_f16_u16_e32 v36, v36
	v_cvt_f16_u16_e32 v37, v37
	v_pack_b32_f16 v36, v36, v37
	v_and_b32_sdwa v37, v215, v240 dst_sel:DWORD dst_unused:UNUSED_PAD src0_sel:WORD_1 src1_sel:DWORD
	v_mul_u32_u24_sdwa v243, v214, s56 dst_sel:DWORD dst_unused:UNUSED_PAD src0_sel:WORD_0 src1_sel:DWORD
	v_mul_u32_u24_sdwa v214, v214, s56 dst_sel:DWORD dst_unused:UNUSED_PAD src0_sel:WORD_1 src1_sel:DWORD
	v_cvt_f16_u16_sdwa v215, v215 dst_sel:DWORD dst_unused:UNUSED_PAD src0_sel:BYTE_3
	v_cvt_f16_u16_e32 v37, v37
	v_mul_u32_u24_sdwa v39, v39, s56 dst_sel:DWORD dst_unused:UNUSED_PAD src0_sel:WORD_1 src1_sel:DWORD
	v_pk_fma_f16 v36, v36, v243, v214
	v_pack_b32_f16 v37, v37, v215
	v_pk_fma_f16 v214, v37, v243, v214
	v_pk_fma_f16 v215, v36, v39, v217
	;; [unrolled: 1-line block ×3, first 2 shown]
	v_lshl_add_u64 v[36:37], v[130:131], 0, s[22:23]
	v_pk_fma_f16 v38, v214, v39, v38
	global_load_dword v39, v[36:37], off
	v_lshl_add_u64 v[36:37], v[124:125], 0, s[22:23]
	global_load_dwordx2 v[36:37], v[36:37], off
	s_waitcnt vmcnt(5)
	v_ashrrev_i32_e32 v242, v234, v242
	v_and_b32_e32 v242, 0xf0f0f0f, v242
	s_waitcnt vmcnt(4)
	v_lshrrev_b32_e32 v243, v233, v33
	v_lshlrev_b32_e32 v243, 4, v243
	v_pk_fma_f16 v214, v214, v245, v216
	v_and_or_b32 v242, v243, 16, v242
	v_lshrrev_b32_e32 v243, v235, v33
	v_lshrrev_b32_e32 v245, v236, v33
	;; [unrolled: 1-line block ×3, first 2 shown]
	v_lshlrev_b32_e32 v243, 12, v243
	v_lshlrev_b32_e32 v245, 20, v245
	v_lshlrev_b32_e32 v33, 28, v33
	v_and_or_b32 v243, v243, s4, v242
	v_and_b32_e32 v245, 0x100000, v245
	v_and_b32_e32 v33, 0x10000000, v33
	v_or3_b32 v33, v245, v33, v243
	v_lshrrev_b32_e32 v243, 8, v243
	v_and_b32_e32 v242, 31, v242
	v_and_b32_e32 v243, 31, v243
	v_cvt_f16_u16_e32 v242, v242
	v_cvt_f16_u16_e32 v243, v243
	v_pack_b32_f16 v242, v242, v243
	v_and_b32_sdwa v243, v33, v240 dst_sel:DWORD dst_unused:UNUSED_PAD src0_sel:WORD_1 src1_sel:DWORD
	v_cvt_f16_u16_sdwa v33, v33 dst_sel:DWORD dst_unused:UNUSED_PAD src0_sel:BYTE_3
	v_cvt_f16_u16_e32 v243, v243
	v_mul_u32_u24_sdwa v245, v32, s56 dst_sel:DWORD dst_unused:UNUSED_PAD src0_sel:WORD_0 src1_sel:DWORD
	v_mul_u32_u24_sdwa v32, v32, s56 dst_sel:DWORD dst_unused:UNUSED_PAD src0_sel:WORD_1 src1_sel:DWORD
	v_pack_b32_f16 v33, v243, v33
	v_mul_u32_u24_sdwa v216, v24, s56 dst_sel:DWORD dst_unused:UNUSED_PAD src0_sel:WORD_0 src1_sel:DWORD
	v_pk_fma_f16 v242, v242, v245, v32
	v_pk_fma_f16 v243, v33, v245, v32
	v_lshl_add_u64 v[32:33], v[142:143], 0, s[22:23]
	v_pk_fma_f16 v215, v242, v216, v215
	v_pk_fma_f16 v38, v243, v216, v38
	global_load_dword v216, v[32:33], off
	v_lshl_add_u64 v[32:33], v[136:137], 0, s[22:23]
	global_load_dwordx2 v[32:33], v[32:33], off
	ds_read_b128 v[28:31], v232 offset:272
	v_mul_u32_u24_sdwa v24, v24, s56 dst_sel:DWORD dst_unused:UNUSED_PAD src0_sel:WORD_1 src1_sel:DWORD
	v_lshl_add_u64 v[76:77], v[76:77], 0, s[54:55]
	v_lshl_add_u64 v[78:79], v[78:79], 0, s[54:55]
	;; [unrolled: 1-line block ×3, first 2 shown]
	s_waitcnt lgkmcnt(0)
	v_mul_u32_u24_sdwa v241, v28, s56 dst_sel:DWORD dst_unused:UNUSED_PAD src0_sel:WORD_0 src1_sel:DWORD
	v_pk_fma_f16 v217, v242, v241, v217
	v_pk_fma_f16 v214, v243, v241, v214
	s_waitcnt vmcnt(5)
	v_ashrrev_i32_e32 v241, v234, v244
	s_waitcnt vmcnt(4)
	v_lshrrev_b32_e32 v242, v233, v35
	v_and_b32_e32 v241, 0xf0f0f0f, v241
	v_lshlrev_b32_e32 v242, 4, v242
	v_and_or_b32 v241, v242, 16, v241
	v_lshrrev_b32_e32 v242, v235, v35
	v_lshrrev_b32_e32 v243, v236, v35
	v_lshrrev_b32_e32 v35, v237, v35
	v_lshlrev_b32_e32 v242, 12, v242
	v_lshlrev_b32_e32 v243, 20, v243
	;; [unrolled: 1-line block ×3, first 2 shown]
	v_and_or_b32 v242, v242, s4, v241
	v_and_b32_e32 v243, 0x100000, v243
	v_and_b32_e32 v35, 0x10000000, v35
	v_or3_b32 v35, v243, v35, v242
	v_lshrrev_b32_e32 v242, 8, v242
	v_and_b32_e32 v241, 31, v241
	v_and_b32_e32 v242, 31, v242
	v_cvt_f16_u16_e32 v241, v241
	v_cvt_f16_u16_e32 v242, v242
	v_pack_b32_f16 v241, v241, v242
	v_and_b32_sdwa v242, v35, v240 dst_sel:DWORD dst_unused:UNUSED_PAD src0_sel:WORD_1 src1_sel:DWORD
	v_cvt_f16_u16_sdwa v35, v35 dst_sel:DWORD dst_unused:UNUSED_PAD src0_sel:BYTE_3
	v_cvt_f16_u16_e32 v242, v242
	v_mul_u32_u24_sdwa v243, v34, s56 dst_sel:DWORD dst_unused:UNUSED_PAD src0_sel:WORD_0 src1_sel:DWORD
	v_mul_u32_u24_sdwa v34, v34, s56 dst_sel:DWORD dst_unused:UNUSED_PAD src0_sel:WORD_1 src1_sel:DWORD
	v_pack_b32_f16 v35, v242, v35
	v_mul_u32_u24_sdwa v28, v28, s56 dst_sel:DWORD dst_unused:UNUSED_PAD src0_sel:WORD_1 src1_sel:DWORD
	v_pk_fma_f16 v241, v241, v243, v34
	v_pk_fma_f16 v34, v35, v243, v34
	;; [unrolled: 1-line block ×6, first 2 shown]
	v_lshl_add_u64 v[34:35], v[154:155], 0, s[22:23]
	global_load_dword v241, v[34:35], off
	v_lshl_add_u64 v[34:35], v[148:149], 0, s[22:23]
	s_waitcnt vmcnt(4)
	v_ashrrev_i32_e32 v39, v234, v39
	global_load_dwordx2 v[34:35], v[34:35], off
	s_waitcnt vmcnt(4)
	v_lshrrev_b32_e32 v242, v233, v37
	v_and_b32_e32 v39, 0xf0f0f0f, v39
	v_lshlrev_b32_e32 v242, 4, v242
	v_and_or_b32 v39, v242, 16, v39
	v_lshrrev_b32_e32 v242, v235, v37
	v_lshrrev_b32_e32 v243, v236, v37
	v_lshrrev_b32_e32 v37, v237, v37
	v_lshlrev_b32_e32 v242, 12, v242
	v_lshlrev_b32_e32 v243, 20, v243
	;; [unrolled: 1-line block ×3, first 2 shown]
	v_and_or_b32 v242, v242, s4, v39
	v_and_b32_e32 v243, 0x100000, v243
	v_and_b32_e32 v37, 0x10000000, v37
	v_or3_b32 v37, v243, v37, v242
	v_lshrrev_b32_e32 v242, 8, v242
	v_and_b32_e32 v39, 31, v39
	v_and_b32_e32 v242, 31, v242
	v_cvt_f16_u16_e32 v39, v39
	v_cvt_f16_u16_e32 v242, v242
	v_pack_b32_f16 v39, v39, v242
	v_and_b32_sdwa v242, v37, v240 dst_sel:DWORD dst_unused:UNUSED_PAD src0_sel:WORD_1 src1_sel:DWORD
	v_cvt_f16_u16_sdwa v37, v37 dst_sel:DWORD dst_unused:UNUSED_PAD src0_sel:BYTE_3
	v_cvt_f16_u16_e32 v242, v242
	v_mul_u32_u24_sdwa v243, v36, s56 dst_sel:DWORD dst_unused:UNUSED_PAD src0_sel:WORD_0 src1_sel:DWORD
	v_mul_u32_u24_sdwa v36, v36, s56 dst_sel:DWORD dst_unused:UNUSED_PAD src0_sel:WORD_1 src1_sel:DWORD
	v_pack_b32_f16 v37, v242, v37
	v_mul_u32_u24_sdwa v38, v25, s56 dst_sel:DWORD dst_unused:UNUSED_PAD src0_sel:WORD_0 src1_sel:DWORD
	v_mul_u32_u24_sdwa v214, v29, s56 dst_sel:DWORD dst_unused:UNUSED_PAD src0_sel:WORD_0 src1_sel:DWORD
	v_pk_fma_f16 v39, v39, v243, v36
	v_pk_fma_f16 v36, v37, v243, v36
	;; [unrolled: 1-line block ×5, first 2 shown]
	v_mul_u32_u24_sdwa v28, v25, s56 dst_sel:DWORD dst_unused:UNUSED_PAD src0_sel:WORD_1 src1_sel:DWORD
	v_lshl_add_u64 v[24:25], v[166:167], 0, s[22:23]
	global_load_dword v215, v[24:25], off
	v_lshl_add_u64 v[24:25], v[160:161], 0, s[22:23]
	v_pk_fma_f16 v39, v39, v214, v217
	v_mul_u32_u24_sdwa v214, v29, s56 dst_sel:DWORD dst_unused:UNUSED_PAD src0_sel:WORD_1 src1_sel:DWORD
	s_waitcnt vmcnt(4)
	v_ashrrev_i32_e32 v29, v234, v216
	global_load_dwordx2 v[24:25], v[24:25], off
	s_waitcnt vmcnt(4)
	v_lshrrev_b32_e32 v216, v233, v33
	v_and_b32_e32 v29, 0xf0f0f0f, v29
	v_lshlrev_b32_e32 v216, 4, v216
	v_and_or_b32 v29, v216, 16, v29
	v_lshrrev_b32_e32 v216, v235, v33
	v_lshrrev_b32_e32 v217, v236, v33
	v_lshrrev_b32_e32 v33, v237, v33
	v_lshlrev_b32_e32 v216, 12, v216
	v_lshlrev_b32_e32 v217, 20, v217
	;; [unrolled: 1-line block ×3, first 2 shown]
	v_and_or_b32 v216, v216, s4, v29
	v_and_b32_e32 v217, 0x100000, v217
	v_and_b32_e32 v33, 0x10000000, v33
	v_or3_b32 v33, v217, v33, v216
	v_lshrrev_b32_e32 v216, 8, v216
	v_and_b32_e32 v29, 31, v29
	v_and_b32_e32 v216, 31, v216
	v_cvt_f16_u16_e32 v29, v29
	v_cvt_f16_u16_e32 v216, v216
	v_pack_b32_f16 v29, v29, v216
	v_and_b32_sdwa v216, v33, v240 dst_sel:DWORD dst_unused:UNUSED_PAD src0_sel:WORD_1 src1_sel:DWORD
	v_cvt_f16_u16_sdwa v33, v33 dst_sel:DWORD dst_unused:UNUSED_PAD src0_sel:BYTE_3
	v_cvt_f16_u16_e32 v216, v216
	v_mul_u32_u24_sdwa v217, v32, s56 dst_sel:DWORD dst_unused:UNUSED_PAD src0_sel:WORD_0 src1_sel:DWORD
	v_mul_u32_u24_sdwa v32, v32, s56 dst_sel:DWORD dst_unused:UNUSED_PAD src0_sel:WORD_1 src1_sel:DWORD
	v_pack_b32_f16 v33, v216, v33
	v_pk_fma_f16 v29, v29, v217, v32
	v_pk_fma_f16 v32, v33, v217, v32
	;; [unrolled: 1-line block ×5, first 2 shown]
	v_lshl_add_u64 v[28:29], v[178:179], 0, s[22:23]
	global_load_dword v39, v[28:29], off
	v_lshl_add_u64 v[28:29], v[172:173], 0, s[22:23]
	global_load_dwordx2 v[28:29], v[28:29], off
	s_waitcnt vmcnt(5)
	v_ashrrev_i32_e32 v216, v234, v241
	v_and_b32_e32 v216, 0xf0f0f0f, v216
	v_pk_fma_f16 v36, v32, v214, v36
	s_waitcnt vmcnt(4)
	v_lshrrev_b32_e32 v217, v233, v35
	v_lshlrev_b32_e32 v217, 4, v217
	v_and_or_b32 v216, v217, 16, v216
	v_lshrrev_b32_e32 v217, v235, v35
	v_lshrrev_b32_e32 v241, v236, v35
	;; [unrolled: 1-line block ×3, first 2 shown]
	v_lshlrev_b32_e32 v217, 12, v217
	v_lshlrev_b32_e32 v241, 20, v241
	;; [unrolled: 1-line block ×3, first 2 shown]
	v_and_or_b32 v217, v217, s4, v216
	v_and_b32_e32 v241, 0x100000, v241
	v_and_b32_e32 v35, 0x10000000, v35
	v_or3_b32 v35, v241, v35, v217
	v_lshrrev_b32_e32 v217, 8, v217
	v_and_b32_e32 v216, 31, v216
	v_and_b32_e32 v217, 31, v217
	v_cvt_f16_u16_e32 v216, v216
	v_cvt_f16_u16_e32 v217, v217
	v_pack_b32_f16 v216, v216, v217
	v_and_b32_sdwa v217, v35, v240 dst_sel:DWORD dst_unused:UNUSED_PAD src0_sel:WORD_1 src1_sel:DWORD
	v_cvt_f16_u16_sdwa v35, v35 dst_sel:DWORD dst_unused:UNUSED_PAD src0_sel:BYTE_3
	v_cvt_f16_u16_e32 v217, v217
	v_mul_u32_u24_sdwa v241, v34, s56 dst_sel:DWORD dst_unused:UNUSED_PAD src0_sel:WORD_0 src1_sel:DWORD
	v_mul_u32_u24_sdwa v34, v34, s56 dst_sel:DWORD dst_unused:UNUSED_PAD src0_sel:WORD_1 src1_sel:DWORD
	v_pack_b32_f16 v35, v217, v35
	v_mul_u32_u24_sdwa v32, v26, s56 dst_sel:DWORD dst_unused:UNUSED_PAD src0_sel:WORD_0 src1_sel:DWORD
	v_pk_fma_f16 v216, v216, v241, v34
	v_pk_fma_f16 v34, v35, v241, v34
	;; [unrolled: 1-line block ×4, first 2 shown]
	v_lshl_add_u64 v[32:33], v[190:191], 0, s[22:23]
	v_mul_u32_u24_sdwa v214, v30, s56 dst_sel:DWORD dst_unused:UNUSED_PAD src0_sel:WORD_0 src1_sel:DWORD
	global_load_dword v217, v[32:33], off
	v_lshl_add_u64 v[32:33], v[184:185], 0, s[22:23]
	v_pk_fma_f16 v216, v216, v214, v37
	v_pk_fma_f16 v34, v34, v214, v36
	global_load_dwordx2 v[36:37], v[32:33], off
	s_waitcnt vmcnt(5)
	v_ashrrev_i32_e32 v32, v234, v215
	v_and_b32_e32 v32, 0xf0f0f0f, v32
	v_mul_u32_u24_sdwa v26, v26, s56 dst_sel:DWORD dst_unused:UNUSED_PAD src0_sel:WORD_1 src1_sel:DWORD
	v_mul_u32_u24_sdwa v30, v30, s56 dst_sel:DWORD dst_unused:UNUSED_PAD src0_sel:WORD_1 src1_sel:DWORD
	s_waitcnt vmcnt(4)
	v_lshrrev_b32_e32 v33, v233, v25
	v_lshlrev_b32_e32 v33, 4, v33
	v_and_or_b32 v32, v33, 16, v32
	v_lshrrev_b32_e32 v33, v235, v25
	v_lshrrev_b32_e32 v214, v236, v25
	;; [unrolled: 1-line block ×3, first 2 shown]
	v_lshlrev_b32_e32 v33, 12, v33
	v_lshlrev_b32_e32 v214, 20, v214
	;; [unrolled: 1-line block ×3, first 2 shown]
	v_and_or_b32 v33, v33, s4, v32
	v_and_b32_e32 v214, 0x100000, v214
	v_and_b32_e32 v25, 0x10000000, v25
	v_or3_b32 v25, v214, v25, v33
	v_lshrrev_b32_e32 v33, 8, v33
	v_and_b32_e32 v32, 31, v32
	v_and_b32_e32 v33, 31, v33
	v_cvt_f16_u16_e32 v32, v32
	v_cvt_f16_u16_e32 v33, v33
	v_pack_b32_f16 v32, v32, v33
	v_and_b32_sdwa v33, v25, v240 dst_sel:DWORD dst_unused:UNUSED_PAD src0_sel:WORD_1 src1_sel:DWORD
	v_cvt_f16_u16_sdwa v25, v25 dst_sel:DWORD dst_unused:UNUSED_PAD src0_sel:BYTE_3
	v_cvt_f16_u16_e32 v33, v33
	v_mul_u32_u24_sdwa v214, v24, s56 dst_sel:DWORD dst_unused:UNUSED_PAD src0_sel:WORD_0 src1_sel:DWORD
	v_mul_u32_u24_sdwa v24, v24, s56 dst_sel:DWORD dst_unused:UNUSED_PAD src0_sel:WORD_1 src1_sel:DWORD
	v_pack_b32_f16 v25, v33, v25
	v_pk_fma_f16 v32, v32, v214, v24
	v_pk_fma_f16 v24, v25, v214, v24
	;; [unrolled: 1-line block ×6, first 2 shown]
	v_lshl_add_u64 v[24:25], v[202:203], 0, s[22:23]
	v_mul_u32_u24_sdwa v34, v27, s56 dst_sel:DWORD dst_unused:UNUSED_PAD src0_sel:WORD_0 src1_sel:DWORD
	s_waitcnt vmcnt(3)
	v_ashrrev_i32_e32 v32, v234, v39
	global_load_dword v39, v[24:25], off
	v_lshl_add_u64 v[24:25], v[196:197], 0, s[22:23]
	v_and_b32_e32 v215, 0xf0f0f0f, v32
	global_load_dwordx2 v[32:33], v[24:25], off
	s_waitcnt vmcnt(4)
	v_lshrrev_b32_e32 v216, v233, v29
	v_lshlrev_b32_e32 v24, 4, v216
	v_and_or_b32 v24, v24, 16, v215
	v_lshrrev_b32_e32 v25, v235, v29
	v_lshrrev_b32_e32 v215, v236, v29
	;; [unrolled: 1-line block ×3, first 2 shown]
	v_lshlrev_b32_e32 v25, 12, v25
	v_lshlrev_b32_e32 v215, 20, v215
	;; [unrolled: 1-line block ×3, first 2 shown]
	v_and_or_b32 v25, v25, s4, v24
	v_and_b32_e32 v215, 0x100000, v215
	v_and_b32_e32 v29, 0x10000000, v29
	v_or3_b32 v29, v215, v29, v25
	v_lshrrev_b32_e32 v25, 8, v25
	v_and_b32_e32 v24, 31, v24
	v_and_b32_e32 v25, 31, v25
	v_cvt_f16_u16_e32 v24, v24
	v_cvt_f16_u16_e32 v25, v25
	v_pack_b32_f16 v24, v24, v25
	v_and_b32_sdwa v25, v29, v240 dst_sel:DWORD dst_unused:UNUSED_PAD src0_sel:WORD_1 src1_sel:DWORD
	v_cvt_f16_u16_sdwa v29, v29 dst_sel:DWORD dst_unused:UNUSED_PAD src0_sel:BYTE_3
	v_cvt_f16_u16_e32 v25, v25
	v_mul_u32_u24_sdwa v215, v28, s56 dst_sel:DWORD dst_unused:UNUSED_PAD src0_sel:WORD_0 src1_sel:DWORD
	v_mul_u32_u24_sdwa v28, v28, s56 dst_sel:DWORD dst_unused:UNUSED_PAD src0_sel:WORD_1 src1_sel:DWORD
	v_pack_b32_f16 v25, v25, v29
	v_mul_u32_u24_sdwa v38, v31, s56 dst_sel:DWORD dst_unused:UNUSED_PAD src0_sel:WORD_0 src1_sel:DWORD
	v_pk_fma_f16 v24, v24, v215, v28
	v_pk_fma_f16 v25, v25, v215, v28
	v_pk_fma_f16 v28, v24, v34, v35
	v_pk_fma_f16 v29, v24, v38, v214
	v_pk_fma_f16 v26, v25, v34, v26
	v_pk_fma_f16 v30, v25, v38, v30
	v_lshl_add_u64 v[24:25], v[206:207], 0, s[22:23]
	s_waitcnt vmcnt(3)
	v_ashrrev_i32_e32 v34, v234, v217
	global_load_dword v38, v[24:25], off
	v_lshl_add_u64 v[24:25], v[208:209], 0, s[22:23]
	v_and_b32_e32 v214, 0xf0f0f0f, v34
	s_waitcnt vmcnt(3)
	v_lshrrev_b32_e32 v215, v233, v37
	global_load_dwordx2 v[34:35], v[24:25], off offset:-4
	v_lshlrev_b32_e32 v24, 4, v215
	v_and_or_b32 v24, v24, 16, v214
	v_lshrrev_b32_e32 v25, v235, v37
	v_lshrrev_b32_e32 v214, v236, v37
	;; [unrolled: 1-line block ×3, first 2 shown]
	v_lshlrev_b32_e32 v25, 12, v25
	v_lshlrev_b32_e32 v214, 20, v214
	;; [unrolled: 1-line block ×3, first 2 shown]
	v_and_or_b32 v25, v25, s4, v24
	v_and_b32_e32 v214, 0x100000, v214
	v_and_b32_e32 v37, 0x10000000, v37
	v_or3_b32 v37, v214, v37, v25
	v_lshrrev_b32_e32 v25, 8, v25
	v_and_b32_e32 v24, 31, v24
	v_and_b32_e32 v25, 31, v25
	v_cvt_f16_u16_e32 v24, v24
	v_cvt_f16_u16_e32 v25, v25
	v_pack_b32_f16 v24, v24, v25
	v_and_b32_sdwa v25, v37, v240 dst_sel:DWORD dst_unused:UNUSED_PAD src0_sel:WORD_1 src1_sel:DWORD
	v_cvt_f16_u16_sdwa v37, v37 dst_sel:DWORD dst_unused:UNUSED_PAD src0_sel:BYTE_3
	v_cvt_f16_u16_e32 v25, v25
	v_mul_u32_u24_sdwa v214, v36, s56 dst_sel:DWORD dst_unused:UNUSED_PAD src0_sel:WORD_0 src1_sel:DWORD
	v_mul_u32_u24_sdwa v36, v36, s56 dst_sel:DWORD dst_unused:UNUSED_PAD src0_sel:WORD_1 src1_sel:DWORD
	v_pack_b32_f16 v25, v25, v37
	v_mul_u32_u24_sdwa v27, v27, s56 dst_sel:DWORD dst_unused:UNUSED_PAD src0_sel:WORD_1 src1_sel:DWORD
	v_mul_u32_u24_sdwa v31, v31, s56 dst_sel:DWORD dst_unused:UNUSED_PAD src0_sel:WORD_1 src1_sel:DWORD
	v_pk_fma_f16 v24, v24, v214, v36
	v_pk_fma_f16 v25, v25, v214, v36
	;; [unrolled: 1-line block ×6, first 2 shown]
	v_lshl_add_u64 v[24:25], v[200:201], 0, s[22:23]
	v_lshl_add_u64 v[36:37], v[204:205], 0, s[22:23]
	global_load_dword v242, v[24:25], off
	ds_read_b128 v[28:31], v232 offset:288
	ds_read_b128 v[24:27], v232 offset:304
	s_waitcnt vmcnt(4)
	v_ashrrev_i32_e32 v39, v234, v39
	v_and_b32_e32 v39, 0xf0f0f0f, v39
	global_load_dwordx2 v[36:37], v[36:37], off offset:-4
	s_waitcnt vmcnt(4)
	v_lshrrev_b32_e32 v244, v233, v33
	v_lshlrev_b32_e32 v244, 4, v244
	v_and_or_b32 v39, v244, 16, v39
	v_lshrrev_b32_e32 v244, v235, v33
	v_lshrrev_b32_e32 v245, v236, v33
	;; [unrolled: 1-line block ×3, first 2 shown]
	v_lshlrev_b32_e32 v244, 12, v244
	v_lshlrev_b32_e32 v245, 20, v245
	;; [unrolled: 1-line block ×3, first 2 shown]
	v_and_or_b32 v244, v244, s4, v39
	v_and_b32_e32 v245, 0x100000, v245
	v_and_b32_e32 v33, 0x10000000, v33
	v_or3_b32 v33, v245, v33, v244
	v_lshrrev_b32_e32 v244, 8, v244
	v_and_b32_e32 v39, 31, v39
	v_and_b32_e32 v244, 31, v244
	v_cvt_f16_u16_e32 v39, v39
	v_cvt_f16_u16_e32 v244, v244
	v_pack_b32_f16 v39, v39, v244
	v_and_b32_sdwa v244, v33, v240 dst_sel:DWORD dst_unused:UNUSED_PAD src0_sel:WORD_1 src1_sel:DWORD
	v_cvt_f16_u16_sdwa v33, v33 dst_sel:DWORD dst_unused:UNUSED_PAD src0_sel:BYTE_3
	v_cvt_f16_u16_e32 v244, v244
	v_mul_u32_u24_sdwa v245, v32, s56 dst_sel:DWORD dst_unused:UNUSED_PAD src0_sel:WORD_0 src1_sel:DWORD
	v_mul_u32_u24_sdwa v32, v32, s56 dst_sel:DWORD dst_unused:UNUSED_PAD src0_sel:WORD_1 src1_sel:DWORD
	v_pack_b32_f16 v33, v244, v33
	v_mul_u32_u24_sdwa v241, v20, s56 dst_sel:DWORD dst_unused:UNUSED_PAD src0_sel:WORD_0 src1_sel:DWORD
	s_waitcnt lgkmcnt(1)
	v_mul_u32_u24_sdwa v243, v28, s56 dst_sel:DWORD dst_unused:UNUSED_PAD src0_sel:WORD_0 src1_sel:DWORD
	v_pk_fma_f16 v39, v39, v245, v32
	v_pk_fma_f16 v32, v33, v245, v32
	;; [unrolled: 1-line block ×6, first 2 shown]
	v_lshl_add_u64 v[32:33], v[194:195], 0, s[22:23]
	global_load_dword v217, v[32:33], off
	v_lshl_add_u64 v[32:33], v[198:199], 0, s[22:23]
	global_load_dwordx2 v[32:33], v[32:33], off offset:-4
	s_waitcnt vmcnt(5)
	v_ashrrev_i32_e32 v38, v234, v38
	v_and_b32_e32 v38, 0xf0f0f0f, v38
	s_waitcnt vmcnt(4)
	v_lshrrev_b32_e32 v241, v233, v35
	v_lshlrev_b32_e32 v241, 4, v241
	v_and_or_b32 v38, v241, 16, v38
	v_lshrrev_b32_e32 v241, v235, v35
	v_lshrrev_b32_e32 v243, v236, v35
	;; [unrolled: 1-line block ×3, first 2 shown]
	v_lshlrev_b32_e32 v241, 12, v241
	v_lshlrev_b32_e32 v243, 20, v243
	;; [unrolled: 1-line block ×3, first 2 shown]
	v_and_or_b32 v241, v241, s4, v38
	v_and_b32_e32 v243, 0x100000, v243
	v_and_b32_e32 v35, 0x10000000, v35
	v_or3_b32 v35, v243, v35, v241
	v_lshrrev_b32_e32 v241, 8, v241
	v_and_b32_e32 v38, 31, v38
	v_and_b32_e32 v241, 31, v241
	v_cvt_f16_u16_e32 v38, v38
	v_cvt_f16_u16_e32 v241, v241
	v_pack_b32_f16 v38, v38, v241
	v_and_b32_sdwa v241, v35, v240 dst_sel:DWORD dst_unused:UNUSED_PAD src0_sel:WORD_1 src1_sel:DWORD
	v_cvt_f16_u16_sdwa v35, v35 dst_sel:DWORD dst_unused:UNUSED_PAD src0_sel:BYTE_3
	v_cvt_f16_u16_e32 v241, v241
	v_mul_u32_u24_sdwa v243, v34, s56 dst_sel:DWORD dst_unused:UNUSED_PAD src0_sel:WORD_0 src1_sel:DWORD
	v_mul_u32_u24_sdwa v34, v34, s56 dst_sel:DWORD dst_unused:UNUSED_PAD src0_sel:WORD_1 src1_sel:DWORD
	v_pack_b32_f16 v35, v241, v35
	v_mul_u32_u24_sdwa v20, v20, s56 dst_sel:DWORD dst_unused:UNUSED_PAD src0_sel:WORD_1 src1_sel:DWORD
	v_mul_u32_u24_sdwa v28, v28, s56 dst_sel:DWORD dst_unused:UNUSED_PAD src0_sel:WORD_1 src1_sel:DWORD
	v_pk_fma_f16 v38, v38, v243, v34
	v_pk_fma_f16 v34, v35, v243, v34
	;; [unrolled: 1-line block ×6, first 2 shown]
	v_lshl_add_u64 v[34:35], v[188:189], 0, s[22:23]
	global_load_dword v215, v[34:35], off
	s_waitcnt vmcnt(4)
	v_ashrrev_i32_e32 v241, v234, v242
	v_lshl_add_u64 v[34:35], v[192:193], 0, s[22:23]
	global_load_dwordx2 v[34:35], v[34:35], off offset:-4
	v_and_b32_e32 v241, 0xf0f0f0f, v241
	v_mul_u32_u24_sdwa v39, v21, s56 dst_sel:DWORD dst_unused:UNUSED_PAD src0_sel:WORD_0 src1_sel:DWORD
	s_waitcnt vmcnt(4)
	v_lshrrev_b32_e32 v242, v233, v37
	v_lshlrev_b32_e32 v242, 4, v242
	v_and_or_b32 v241, v242, 16, v241
	v_lshrrev_b32_e32 v242, v235, v37
	v_lshrrev_b32_e32 v243, v236, v37
	;; [unrolled: 1-line block ×3, first 2 shown]
	v_lshlrev_b32_e32 v242, 12, v242
	v_lshlrev_b32_e32 v243, 20, v243
	v_lshlrev_b32_e32 v37, 28, v37
	v_and_or_b32 v242, v242, s4, v241
	v_and_b32_e32 v243, 0x100000, v243
	v_and_b32_e32 v37, 0x10000000, v37
	v_or3_b32 v37, v243, v37, v242
	v_lshrrev_b32_e32 v242, 8, v242
	v_and_b32_e32 v241, 31, v241
	v_and_b32_e32 v242, 31, v242
	v_cvt_f16_u16_e32 v241, v241
	v_cvt_f16_u16_e32 v242, v242
	v_pack_b32_f16 v241, v241, v242
	v_and_b32_sdwa v242, v37, v240 dst_sel:DWORD dst_unused:UNUSED_PAD src0_sel:WORD_1 src1_sel:DWORD
	v_cvt_f16_u16_sdwa v37, v37 dst_sel:DWORD dst_unused:UNUSED_PAD src0_sel:BYTE_3
	v_cvt_f16_u16_e32 v242, v242
	v_mul_u32_u24_sdwa v243, v36, s56 dst_sel:DWORD dst_unused:UNUSED_PAD src0_sel:WORD_0 src1_sel:DWORD
	v_mul_u32_u24_sdwa v36, v36, s56 dst_sel:DWORD dst_unused:UNUSED_PAD src0_sel:WORD_1 src1_sel:DWORD
	v_pack_b32_f16 v37, v242, v37
	v_mul_u32_u24_sdwa v216, v29, s56 dst_sel:DWORD dst_unused:UNUSED_PAD src0_sel:WORD_0 src1_sel:DWORD
	v_pk_fma_f16 v241, v241, v243, v36
	v_pk_fma_f16 v36, v37, v243, v36
	;; [unrolled: 1-line block ×6, first 2 shown]
	v_mul_u32_u24_sdwa v36, v21, s56 dst_sel:DWORD dst_unused:UNUSED_PAD src0_sel:WORD_1 src1_sel:DWORD
	v_lshl_add_u64 v[20:21], v[182:183], 0, s[22:23]
	global_load_dword v214, v[20:21], off
	s_waitcnt vmcnt(4)
	v_ashrrev_i32_e32 v216, v234, v217
	v_lshl_add_u64 v[20:21], v[186:187], 0, s[22:23]
	s_waitcnt vmcnt(3)
	v_lshrrev_b32_e32 v217, v233, v33
	v_and_b32_e32 v216, 0xf0f0f0f, v216
	v_lshlrev_b32_e32 v217, 4, v217
	global_load_dwordx2 v[20:21], v[20:21], off offset:-4
	v_and_or_b32 v216, v217, 16, v216
	v_lshrrev_b32_e32 v217, v235, v33
	v_lshrrev_b32_e32 v241, v236, v33
	;; [unrolled: 1-line block ×3, first 2 shown]
	v_lshlrev_b32_e32 v217, 12, v217
	v_lshlrev_b32_e32 v241, 20, v241
	;; [unrolled: 1-line block ×3, first 2 shown]
	v_and_or_b32 v217, v217, s4, v216
	v_and_b32_e32 v241, 0x100000, v241
	v_and_b32_e32 v33, 0x10000000, v33
	v_or3_b32 v33, v241, v33, v217
	v_lshrrev_b32_e32 v217, 8, v217
	v_and_b32_e32 v216, 31, v216
	v_and_b32_e32 v217, 31, v217
	v_cvt_f16_u16_e32 v216, v216
	v_cvt_f16_u16_e32 v217, v217
	v_pack_b32_f16 v216, v216, v217
	v_and_b32_sdwa v217, v33, v240 dst_sel:DWORD dst_unused:UNUSED_PAD src0_sel:WORD_1 src1_sel:DWORD
	v_cvt_f16_u16_sdwa v33, v33 dst_sel:DWORD dst_unused:UNUSED_PAD src0_sel:BYTE_3
	v_cvt_f16_u16_e32 v217, v217
	v_mul_u32_u24_sdwa v241, v32, s56 dst_sel:DWORD dst_unused:UNUSED_PAD src0_sel:WORD_0 src1_sel:DWORD
	v_mul_u32_u24_sdwa v32, v32, s56 dst_sel:DWORD dst_unused:UNUSED_PAD src0_sel:WORD_1 src1_sel:DWORD
	v_pack_b32_f16 v33, v217, v33
	v_mul_u32_u24_sdwa v29, v29, s56 dst_sel:DWORD dst_unused:UNUSED_PAD src0_sel:WORD_1 src1_sel:DWORD
	v_pk_fma_f16 v216, v216, v241, v32
	v_pk_fma_f16 v32, v33, v241, v32
	;; [unrolled: 1-line block ×6, first 2 shown]
	v_lshl_add_u64 v[28:29], v[176:177], 0, s[22:23]
	global_load_dword v39, v[28:29], off
	v_lshl_add_u64 v[28:29], v[180:181], 0, s[22:23]
	global_load_dwordx2 v[28:29], v[28:29], off offset:-4
	s_waitcnt vmcnt(5)
	v_ashrrev_i32_e32 v215, v234, v215
	v_and_b32_e32 v215, 0xf0f0f0f, v215
	s_waitcnt vmcnt(4)
	v_lshrrev_b32_e32 v217, v233, v35
	v_lshlrev_b32_e32 v217, 4, v217
	v_and_or_b32 v215, v217, 16, v215
	v_lshrrev_b32_e32 v217, v235, v35
	v_lshrrev_b32_e32 v241, v236, v35
	;; [unrolled: 1-line block ×3, first 2 shown]
	v_lshlrev_b32_e32 v217, 12, v217
	v_lshlrev_b32_e32 v241, 20, v241
	;; [unrolled: 1-line block ×3, first 2 shown]
	v_and_or_b32 v217, v217, s4, v215
	v_and_b32_e32 v241, 0x100000, v241
	v_and_b32_e32 v35, 0x10000000, v35
	v_or3_b32 v35, v241, v35, v217
	v_lshrrev_b32_e32 v217, 8, v217
	v_and_b32_e32 v215, 31, v215
	v_and_b32_e32 v217, 31, v217
	v_cvt_f16_u16_e32 v215, v215
	v_cvt_f16_u16_e32 v217, v217
	v_pack_b32_f16 v215, v215, v217
	v_and_b32_sdwa v217, v35, v240 dst_sel:DWORD dst_unused:UNUSED_PAD src0_sel:WORD_1 src1_sel:DWORD
	v_cvt_f16_u16_sdwa v35, v35 dst_sel:DWORD dst_unused:UNUSED_PAD src0_sel:BYTE_3
	v_cvt_f16_u16_e32 v217, v217
	v_mul_u32_u24_sdwa v241, v34, s56 dst_sel:DWORD dst_unused:UNUSED_PAD src0_sel:WORD_0 src1_sel:DWORD
	v_mul_u32_u24_sdwa v34, v34, s56 dst_sel:DWORD dst_unused:UNUSED_PAD src0_sel:WORD_1 src1_sel:DWORD
	v_pack_b32_f16 v35, v217, v35
	v_mul_u32_u24_sdwa v38, v22, s56 dst_sel:DWORD dst_unused:UNUSED_PAD src0_sel:WORD_0 src1_sel:DWORD
	v_mul_u32_u24_sdwa v216, v30, s56 dst_sel:DWORD dst_unused:UNUSED_PAD src0_sel:WORD_0 src1_sel:DWORD
	v_pk_fma_f16 v215, v215, v241, v34
	v_pk_fma_f16 v34, v35, v241, v34
	;; [unrolled: 1-line block ×5, first 2 shown]
	v_lshl_add_u64 v[32:33], v[170:171], 0, s[22:23]
	v_pk_fma_f16 v37, v215, v216, v37
	global_load_dword v38, v[32:33], off
	v_lshl_add_u64 v[32:33], v[174:175], 0, s[22:23]
	global_load_dwordx2 v[32:33], v[32:33], off offset:-4
	s_waitcnt vmcnt(5)
	v_ashrrev_i32_e32 v214, v234, v214
	v_and_b32_e32 v214, 0xf0f0f0f, v214
	v_mul_u32_u24_sdwa v22, v22, s56 dst_sel:DWORD dst_unused:UNUSED_PAD src0_sel:WORD_1 src1_sel:DWORD
	v_mul_u32_u24_sdwa v30, v30, s56 dst_sel:DWORD dst_unused:UNUSED_PAD src0_sel:WORD_1 src1_sel:DWORD
	v_lshl_add_u64 v[82:83], v[82:83], 0, s[52:53]
	v_lshl_add_u64 v[84:85], v[84:85], 0, s[54:55]
	s_waitcnt vmcnt(4)
	v_lshrrev_b32_e32 v215, v233, v21
	v_lshlrev_b32_e32 v215, 4, v215
	v_and_or_b32 v214, v215, 16, v214
	v_lshrrev_b32_e32 v215, v235, v21
	v_lshrrev_b32_e32 v216, v236, v21
	v_lshrrev_b32_e32 v21, v237, v21
	v_lshlrev_b32_e32 v215, 12, v215
	v_lshlrev_b32_e32 v216, 20, v216
	;; [unrolled: 1-line block ×3, first 2 shown]
	v_and_or_b32 v215, v215, s4, v214
	v_and_b32_e32 v216, 0x100000, v216
	v_and_b32_e32 v21, 0x10000000, v21
	v_or3_b32 v21, v216, v21, v215
	v_lshrrev_b32_e32 v215, 8, v215
	v_and_b32_e32 v214, 31, v214
	v_and_b32_e32 v215, 31, v215
	v_cvt_f16_u16_e32 v214, v214
	v_cvt_f16_u16_e32 v215, v215
	v_pack_b32_f16 v214, v214, v215
	v_and_b32_sdwa v215, v21, v240 dst_sel:DWORD dst_unused:UNUSED_PAD src0_sel:WORD_1 src1_sel:DWORD
	v_cvt_f16_u16_sdwa v21, v21 dst_sel:DWORD dst_unused:UNUSED_PAD src0_sel:BYTE_3
	v_cvt_f16_u16_e32 v215, v215
	v_mul_u32_u24_sdwa v216, v20, s56 dst_sel:DWORD dst_unused:UNUSED_PAD src0_sel:WORD_0 src1_sel:DWORD
	v_mul_u32_u24_sdwa v20, v20, s56 dst_sel:DWORD dst_unused:UNUSED_PAD src0_sel:WORD_1 src1_sel:DWORD
	v_pack_b32_f16 v21, v215, v21
	v_pk_fma_f16 v214, v214, v216, v20
	v_pk_fma_f16 v20, v21, v216, v20
	;; [unrolled: 1-line block ×6, first 2 shown]
	v_lshl_add_u64 v[20:21], v[164:165], 0, s[22:23]
	s_waitcnt vmcnt(3)
	v_ashrrev_i32_e32 v39, v234, v39
	global_load_dword v36, v[20:21], off
	s_waitcnt vmcnt(3)
	v_lshrrev_b32_e32 v215, v233, v29
	v_lshl_add_u64 v[20:21], v[168:169], 0, s[22:23]
	v_and_b32_e32 v39, 0xf0f0f0f, v39
	v_lshlrev_b32_e32 v215, 4, v215
	global_load_dwordx2 v[20:21], v[20:21], off offset:-4
	v_and_or_b32 v39, v215, 16, v39
	v_lshrrev_b32_e32 v215, v235, v29
	v_lshrrev_b32_e32 v216, v236, v29
	;; [unrolled: 1-line block ×3, first 2 shown]
	v_lshlrev_b32_e32 v215, 12, v215
	v_lshlrev_b32_e32 v216, 20, v216
	;; [unrolled: 1-line block ×3, first 2 shown]
	v_and_or_b32 v215, v215, s4, v39
	v_and_b32_e32 v216, 0x100000, v216
	v_and_b32_e32 v29, 0x10000000, v29
	v_or3_b32 v29, v216, v29, v215
	v_lshrrev_b32_e32 v215, 8, v215
	v_and_b32_e32 v39, 31, v39
	v_and_b32_e32 v215, 31, v215
	v_cvt_f16_u16_e32 v39, v39
	v_cvt_f16_u16_e32 v215, v215
	v_pack_b32_f16 v39, v39, v215
	v_and_b32_sdwa v215, v29, v240 dst_sel:DWORD dst_unused:UNUSED_PAD src0_sel:WORD_1 src1_sel:DWORD
	v_cvt_f16_u16_sdwa v29, v29 dst_sel:DWORD dst_unused:UNUSED_PAD src0_sel:BYTE_3
	v_cvt_f16_u16_e32 v215, v215
	v_mul_u32_u24_sdwa v216, v28, s56 dst_sel:DWORD dst_unused:UNUSED_PAD src0_sel:WORD_0 src1_sel:DWORD
	v_mul_u32_u24_sdwa v28, v28, s56 dst_sel:DWORD dst_unused:UNUSED_PAD src0_sel:WORD_1 src1_sel:DWORD
	v_pack_b32_f16 v29, v215, v29
	v_mul_u32_u24_sdwa v34, v23, s56 dst_sel:DWORD dst_unused:UNUSED_PAD src0_sel:WORD_0 src1_sel:DWORD
	v_mul_u32_u24_sdwa v214, v31, s56 dst_sel:DWORD dst_unused:UNUSED_PAD src0_sel:WORD_0 src1_sel:DWORD
	v_pk_fma_f16 v39, v39, v216, v28
	v_pk_fma_f16 v28, v29, v216, v28
	;; [unrolled: 1-line block ×5, first 2 shown]
	v_mul_u32_u24_sdwa v28, v23, s56 dst_sel:DWORD dst_unused:UNUSED_PAD src0_sel:WORD_1 src1_sel:DWORD
	v_lshl_add_u64 v[22:23], v[158:159], 0, s[22:23]
	v_pk_fma_f16 v35, v39, v214, v37
	global_load_dword v37, v[22:23], off
	v_lshl_add_u64 v[22:23], v[162:163], 0, s[22:23]
	global_load_dwordx2 v[22:23], v[22:23], off offset:-4
	s_waitcnt vmcnt(5)
	v_ashrrev_i32_e32 v38, v234, v38
	s_waitcnt vmcnt(4)
	v_lshrrev_b32_e32 v39, v233, v33
	v_and_b32_e32 v38, 0xf0f0f0f, v38
	v_lshlrev_b32_e32 v39, 4, v39
	v_and_or_b32 v38, v39, 16, v38
	v_lshrrev_b32_e32 v39, v235, v33
	v_lshrrev_b32_e32 v214, v236, v33
	;; [unrolled: 1-line block ×3, first 2 shown]
	v_lshlrev_b32_e32 v39, 12, v39
	v_lshlrev_b32_e32 v214, 20, v214
	;; [unrolled: 1-line block ×3, first 2 shown]
	v_and_or_b32 v39, v39, s4, v38
	v_and_b32_e32 v214, 0x100000, v214
	v_and_b32_e32 v33, 0x10000000, v33
	v_or3_b32 v33, v214, v33, v39
	v_lshrrev_b32_e32 v39, 8, v39
	v_and_b32_e32 v38, 31, v38
	v_and_b32_e32 v39, 31, v39
	v_cvt_f16_u16_e32 v38, v38
	v_cvt_f16_u16_e32 v39, v39
	v_pack_b32_f16 v38, v38, v39
	v_and_b32_sdwa v39, v33, v240 dst_sel:DWORD dst_unused:UNUSED_PAD src0_sel:WORD_1 src1_sel:DWORD
	v_cvt_f16_u16_sdwa v33, v33 dst_sel:DWORD dst_unused:UNUSED_PAD src0_sel:BYTE_3
	v_cvt_f16_u16_e32 v39, v39
	v_mul_u32_u24_sdwa v214, v32, s56 dst_sel:DWORD dst_unused:UNUSED_PAD src0_sel:WORD_0 src1_sel:DWORD
	v_mul_u32_u24_sdwa v32, v32, s56 dst_sel:DWORD dst_unused:UNUSED_PAD src0_sel:WORD_1 src1_sel:DWORD
	v_pack_b32_f16 v33, v39, v33
	v_pk_fma_f16 v38, v38, v214, v32
	v_pk_fma_f16 v32, v33, v214, v32
	v_mul_u32_u24_sdwa v31, v31, s56 dst_sel:DWORD dst_unused:UNUSED_PAD src0_sel:WORD_1 src1_sel:DWORD
	v_pk_fma_f16 v33, v38, v28, v29
	v_pk_fma_f16 v34, v32, v28, v34
	v_lshl_add_u64 v[28:29], v[152:153], 0, s[22:23]
	v_pk_fma_f16 v35, v38, v31, v35
	global_load_dword v38, v[28:29], off
	v_lshl_add_u64 v[28:29], v[156:157], 0, s[22:23]
	global_load_dwordx2 v[28:29], v[28:29], off offset:-4
	v_pk_fma_f16 v30, v32, v31, v30
	s_waitcnt vmcnt(5)
	v_ashrrev_i32_e32 v36, v234, v36
	v_and_b32_e32 v36, 0xf0f0f0f, v36
	v_mul_u32_u24_sdwa v31, v16, s56 dst_sel:DWORD dst_unused:UNUSED_PAD src0_sel:WORD_0 src1_sel:DWORD
	s_waitcnt lgkmcnt(0)
	v_mul_u32_u24_sdwa v32, v24, s56 dst_sel:DWORD dst_unused:UNUSED_PAD src0_sel:WORD_0 src1_sel:DWORD
	v_mul_u32_u24_sdwa v16, v16, s56 dst_sel:DWORD dst_unused:UNUSED_PAD src0_sel:WORD_1 src1_sel:DWORD
	s_waitcnt vmcnt(4)
	v_lshrrev_b32_e32 v39, v233, v21
	v_lshlrev_b32_e32 v39, 4, v39
	v_and_or_b32 v36, v39, 16, v36
	v_lshrrev_b32_e32 v39, v235, v21
	v_lshrrev_b32_e32 v214, v236, v21
	;; [unrolled: 1-line block ×3, first 2 shown]
	v_lshlrev_b32_e32 v39, 12, v39
	v_lshlrev_b32_e32 v214, 20, v214
	;; [unrolled: 1-line block ×3, first 2 shown]
	v_and_or_b32 v39, v39, s4, v36
	v_and_b32_e32 v214, 0x100000, v214
	v_and_b32_e32 v21, 0x10000000, v21
	v_or3_b32 v21, v214, v21, v39
	v_lshrrev_b32_e32 v39, 8, v39
	v_and_b32_e32 v36, 31, v36
	v_and_b32_e32 v39, 31, v39
	v_cvt_f16_u16_e32 v36, v36
	v_cvt_f16_u16_e32 v39, v39
	v_pack_b32_f16 v36, v36, v39
	v_and_b32_sdwa v39, v21, v240 dst_sel:DWORD dst_unused:UNUSED_PAD src0_sel:WORD_1 src1_sel:DWORD
	v_cvt_f16_u16_sdwa v21, v21 dst_sel:DWORD dst_unused:UNUSED_PAD src0_sel:BYTE_3
	v_cvt_f16_u16_e32 v39, v39
	v_mul_u32_u24_sdwa v214, v20, s56 dst_sel:DWORD dst_unused:UNUSED_PAD src0_sel:WORD_0 src1_sel:DWORD
	v_mul_u32_u24_sdwa v20, v20, s56 dst_sel:DWORD dst_unused:UNUSED_PAD src0_sel:WORD_1 src1_sel:DWORD
	v_pack_b32_f16 v21, v39, v21
	v_pk_fma_f16 v36, v36, v214, v20
	v_pk_fma_f16 v39, v21, v214, v20
	;; [unrolled: 1-line block ×4, first 2 shown]
	v_lshl_add_u64 v[20:21], v[146:147], 0, s[22:23]
	v_pk_fma_f16 v30, v39, v32, v30
	v_pk_fma_f16 v31, v39, v31, v34
	global_load_dword v34, v[20:21], off
	v_lshl_add_u64 v[20:21], v[150:151], 0, s[22:23]
	s_waitcnt vmcnt(4)
	v_ashrrev_i32_e32 v32, v234, v37
	v_and_b32_e32 v32, 0xf0f0f0f, v32
	s_waitcnt vmcnt(3)
	v_lshrrev_b32_e32 v36, v233, v23
	v_lshlrev_b32_e32 v36, 4, v36
	global_load_dwordx2 v[20:21], v[20:21], off offset:-4
	v_and_or_b32 v32, v36, 16, v32
	v_lshrrev_b32_e32 v36, v235, v23
	v_lshrrev_b32_e32 v37, v236, v23
	;; [unrolled: 1-line block ×3, first 2 shown]
	v_lshlrev_b32_e32 v36, 12, v36
	v_lshlrev_b32_e32 v37, 20, v37
	v_lshlrev_b32_e32 v23, 28, v23
	v_and_or_b32 v36, v36, s4, v32
	v_and_b32_e32 v37, 0x100000, v37
	v_and_b32_e32 v23, 0x10000000, v23
	v_or3_b32 v23, v37, v23, v36
	v_lshrrev_b32_e32 v36, 8, v36
	v_and_b32_e32 v32, 31, v32
	v_and_b32_e32 v36, 31, v36
	v_cvt_f16_u16_e32 v32, v32
	v_cvt_f16_u16_e32 v36, v36
	v_pack_b32_f16 v32, v32, v36
	v_and_b32_sdwa v36, v23, v240 dst_sel:DWORD dst_unused:UNUSED_PAD src0_sel:WORD_1 src1_sel:DWORD
	v_cvt_f16_u16_sdwa v23, v23 dst_sel:DWORD dst_unused:UNUSED_PAD src0_sel:BYTE_3
	v_cvt_f16_u16_e32 v36, v36
	v_mul_u32_u24_sdwa v37, v22, s56 dst_sel:DWORD dst_unused:UNUSED_PAD src0_sel:WORD_0 src1_sel:DWORD
	v_mul_u32_u24_sdwa v22, v22, s56 dst_sel:DWORD dst_unused:UNUSED_PAD src0_sel:WORD_1 src1_sel:DWORD
	v_pack_b32_f16 v23, v36, v23
	v_mul_u32_u24_sdwa v24, v24, s56 dst_sel:DWORD dst_unused:UNUSED_PAD src0_sel:WORD_1 src1_sel:DWORD
	v_pk_fma_f16 v32, v32, v37, v22
	v_pk_fma_f16 v22, v23, v37, v22
	;; [unrolled: 1-line block ×6, first 2 shown]
	v_lshl_add_u64 v[22:23], v[140:141], 0, s[22:23]
	global_load_dword v36, v[22:23], off
	v_lshl_add_u64 v[22:23], v[144:145], 0, s[22:23]
	global_load_dwordx2 v[22:23], v[22:23], off offset:-4
	s_waitcnt vmcnt(5)
	v_ashrrev_i32_e32 v35, v234, v38
	s_waitcnt vmcnt(4)
	v_lshrrev_b32_e32 v37, v233, v29
	v_and_b32_e32 v35, 0xf0f0f0f, v35
	v_lshlrev_b32_e32 v37, 4, v37
	v_and_or_b32 v35, v37, 16, v35
	v_lshrrev_b32_e32 v37, v235, v29
	v_lshrrev_b32_e32 v38, v236, v29
	;; [unrolled: 1-line block ×3, first 2 shown]
	v_lshlrev_b32_e32 v37, 12, v37
	v_lshlrev_b32_e32 v38, 20, v38
	;; [unrolled: 1-line block ×3, first 2 shown]
	v_and_or_b32 v37, v37, s4, v35
	v_and_b32_e32 v38, 0x100000, v38
	v_and_b32_e32 v29, 0x10000000, v29
	v_or3_b32 v29, v38, v29, v37
	v_lshrrev_b32_e32 v37, 8, v37
	v_and_b32_e32 v35, 31, v35
	v_and_b32_e32 v37, 31, v37
	v_cvt_f16_u16_e32 v35, v35
	v_cvt_f16_u16_e32 v37, v37
	v_pack_b32_f16 v35, v35, v37
	v_and_b32_sdwa v37, v29, v240 dst_sel:DWORD dst_unused:UNUSED_PAD src0_sel:WORD_1 src1_sel:DWORD
	v_cvt_f16_u16_sdwa v29, v29 dst_sel:DWORD dst_unused:UNUSED_PAD src0_sel:BYTE_3
	v_cvt_f16_u16_e32 v37, v37
	v_mul_u32_u24_sdwa v38, v28, s56 dst_sel:DWORD dst_unused:UNUSED_PAD src0_sel:WORD_0 src1_sel:DWORD
	v_mul_u32_u24_sdwa v28, v28, s56 dst_sel:DWORD dst_unused:UNUSED_PAD src0_sel:WORD_1 src1_sel:DWORD
	v_pack_b32_f16 v29, v37, v29
	v_mul_u32_u24_sdwa v30, v17, s56 dst_sel:DWORD dst_unused:UNUSED_PAD src0_sel:WORD_0 src1_sel:DWORD
	v_mul_u32_u24_sdwa v31, v25, s56 dst_sel:DWORD dst_unused:UNUSED_PAD src0_sel:WORD_0 src1_sel:DWORD
	v_pk_fma_f16 v35, v35, v38, v28
	v_pk_fma_f16 v28, v29, v38, v28
	;; [unrolled: 1-line block ×5, first 2 shown]
	v_mul_u32_u24_sdwa v28, v17, s56 dst_sel:DWORD dst_unused:UNUSED_PAD src0_sel:WORD_1 src1_sel:DWORD
	v_lshl_add_u64 v[16:17], v[134:135], 0, s[22:23]
	v_pk_fma_f16 v32, v35, v31, v32
	global_load_dword v33, v[16:17], off
	v_lshl_add_u64 v[16:17], v[138:139], 0, s[22:23]
	s_waitcnt vmcnt(4)
	v_ashrrev_i32_e32 v31, v234, v34
	global_load_dwordx2 v[16:17], v[16:17], off offset:-4
	v_and_b32_e32 v31, 0xf0f0f0f, v31
	v_mul_u32_u24_sdwa v25, v25, s56 dst_sel:DWORD dst_unused:UNUSED_PAD src0_sel:WORD_1 src1_sel:DWORD
	v_lshl_add_u64 v[86:87], v[86:87], 0, s[52:53]
	v_lshl_add_u64 v[88:89], v[88:89], 0, s[54:55]
	s_waitcnt vmcnt(4)
	v_lshrrev_b32_e32 v34, v233, v21
	v_lshlrev_b32_e32 v34, 4, v34
	v_and_or_b32 v31, v34, 16, v31
	v_lshrrev_b32_e32 v34, v235, v21
	v_lshrrev_b32_e32 v35, v236, v21
	;; [unrolled: 1-line block ×3, first 2 shown]
	v_lshlrev_b32_e32 v34, 12, v34
	v_lshlrev_b32_e32 v35, 20, v35
	;; [unrolled: 1-line block ×3, first 2 shown]
	v_and_or_b32 v34, v34, s4, v31
	v_and_b32_e32 v35, 0x100000, v35
	v_and_b32_e32 v21, 0x10000000, v21
	v_or3_b32 v21, v35, v21, v34
	v_lshrrev_b32_e32 v34, 8, v34
	v_and_b32_e32 v31, 31, v31
	v_and_b32_e32 v34, 31, v34
	v_cvt_f16_u16_e32 v31, v31
	v_cvt_f16_u16_e32 v34, v34
	v_pack_b32_f16 v31, v31, v34
	v_and_b32_sdwa v34, v21, v240 dst_sel:DWORD dst_unused:UNUSED_PAD src0_sel:WORD_1 src1_sel:DWORD
	v_cvt_f16_u16_sdwa v21, v21 dst_sel:DWORD dst_unused:UNUSED_PAD src0_sel:BYTE_3
	v_cvt_f16_u16_e32 v34, v34
	v_mul_u32_u24_sdwa v35, v20, s56 dst_sel:DWORD dst_unused:UNUSED_PAD src0_sel:WORD_0 src1_sel:DWORD
	v_mul_u32_u24_sdwa v20, v20, s56 dst_sel:DWORD dst_unused:UNUSED_PAD src0_sel:WORD_1 src1_sel:DWORD
	v_pack_b32_f16 v21, v34, v21
	v_pk_fma_f16 v31, v31, v35, v20
	v_pk_fma_f16 v34, v21, v35, v20
	v_lshl_add_u64 v[20:21], v[128:129], 0, s[22:23]
	v_pk_fma_f16 v29, v31, v28, v29
	v_pk_fma_f16 v28, v34, v28, v30
	global_load_dword v30, v[20:21], off
	v_lshl_add_u64 v[20:21], v[132:133], 0, s[22:23]
	v_pk_fma_f16 v24, v34, v25, v24
	s_waitcnt vmcnt(4)
	v_ashrrev_i32_e32 v34, v234, v36
	s_waitcnt vmcnt(3)
	v_lshrrev_b32_e32 v35, v233, v23
	global_load_dwordx2 v[20:21], v[20:21], off offset:-4
	v_and_b32_e32 v34, 0xf0f0f0f, v34
	v_lshlrev_b32_e32 v35, 4, v35
	v_and_or_b32 v34, v35, 16, v34
	v_lshrrev_b32_e32 v35, v235, v23
	v_lshrrev_b32_e32 v36, v236, v23
	;; [unrolled: 1-line block ×3, first 2 shown]
	v_lshlrev_b32_e32 v35, 12, v35
	v_lshlrev_b32_e32 v36, 20, v36
	;; [unrolled: 1-line block ×3, first 2 shown]
	v_and_or_b32 v35, v35, s4, v34
	v_and_b32_e32 v36, 0x100000, v36
	v_and_b32_e32 v23, 0x10000000, v23
	v_or3_b32 v23, v36, v23, v35
	v_lshrrev_b32_e32 v35, 8, v35
	v_and_b32_e32 v34, 31, v34
	v_and_b32_e32 v35, 31, v35
	v_mul_u32_u24_sdwa v36, v22, s56 dst_sel:DWORD dst_unused:UNUSED_PAD src0_sel:WORD_0 src1_sel:DWORD
	v_mul_u32_u24_sdwa v37, v22, s56 dst_sel:DWORD dst_unused:UNUSED_PAD src0_sel:WORD_1 src1_sel:DWORD
	v_cvt_f16_u16_e32 v22, v34
	v_cvt_f16_u16_e32 v34, v35
	v_pack_b32_f16 v22, v22, v34
	v_pk_fma_f16 v34, v22, v36, v37
	v_and_b32_sdwa v22, v23, v240 dst_sel:DWORD dst_unused:UNUSED_PAD src0_sel:WORD_1 src1_sel:DWORD
	v_cvt_f16_u16_sdwa v23, v23 dst_sel:DWORD dst_unused:UNUSED_PAD src0_sel:BYTE_3
	v_cvt_f16_u16_e32 v22, v22
	v_pack_b32_f16 v35, v22, v23
	v_lshl_add_u64 v[22:23], v[122:123], 0, s[22:23]
	global_load_dword v38, v[22:23], off
	v_lshl_add_u64 v[22:23], v[126:127], 0, s[22:23]
	global_load_dwordx2 v[22:23], v[22:23], off
	v_pk_fma_f16 v31, v31, v25, v32
	v_mul_u32_u24_sdwa v25, v18, s56 dst_sel:DWORD dst_unused:UNUSED_PAD src0_sel:WORD_0 src1_sel:DWORD
	v_mul_u32_u24_sdwa v32, v26, s56 dst_sel:DWORD dst_unused:UNUSED_PAD src0_sel:WORD_0 src1_sel:DWORD
	v_pk_fma_f16 v35, v35, v36, v37
	v_pk_fma_f16 v29, v34, v25, v29
	;; [unrolled: 1-line block ×5, first 2 shown]
	s_waitcnt vmcnt(5)
	v_ashrrev_i32_e32 v28, v234, v33
	s_waitcnt vmcnt(4)
	v_lshrrev_b32_e32 v32, v233, v17
	v_and_b32_e32 v28, 0xf0f0f0f, v28
	v_lshlrev_b32_e32 v32, 4, v32
	v_and_or_b32 v28, v32, 16, v28
	v_lshrrev_b32_e32 v32, v235, v17
	v_lshrrev_b32_e32 v33, v236, v17
	;; [unrolled: 1-line block ×3, first 2 shown]
	v_lshlrev_b32_e32 v32, 12, v32
	v_lshlrev_b32_e32 v33, 20, v33
	;; [unrolled: 1-line block ×3, first 2 shown]
	v_and_or_b32 v32, v32, s4, v28
	v_and_b32_e32 v33, 0x100000, v33
	v_and_b32_e32 v17, 0x10000000, v17
	v_or3_b32 v17, v33, v17, v32
	v_lshrrev_b32_e32 v32, 8, v32
	v_and_b32_e32 v28, 31, v28
	v_and_b32_e32 v32, 31, v32
	v_cvt_f16_u16_e32 v28, v28
	v_cvt_f16_u16_e32 v32, v32
	v_pack_b32_f16 v28, v28, v32
	v_and_b32_sdwa v32, v17, v240 dst_sel:DWORD dst_unused:UNUSED_PAD src0_sel:WORD_1 src1_sel:DWORD
	v_cvt_f16_u16_sdwa v17, v17 dst_sel:DWORD dst_unused:UNUSED_PAD src0_sel:BYTE_3
	v_cvt_f16_u16_e32 v32, v32
	v_mul_u32_u24_sdwa v33, v16, s56 dst_sel:DWORD dst_unused:UNUSED_PAD src0_sel:WORD_0 src1_sel:DWORD
	v_mul_u32_u24_sdwa v16, v16, s56 dst_sel:DWORD dst_unused:UNUSED_PAD src0_sel:WORD_1 src1_sel:DWORD
	v_pack_b32_f16 v17, v32, v17
	v_mul_u32_u24_sdwa v18, v18, s56 dst_sel:DWORD dst_unused:UNUSED_PAD src0_sel:WORD_1 src1_sel:DWORD
	v_mul_u32_u24_sdwa v26, v26, s56 dst_sel:DWORD dst_unused:UNUSED_PAD src0_sel:WORD_1 src1_sel:DWORD
	v_pk_fma_f16 v28, v28, v33, v16
	v_pk_fma_f16 v16, v17, v33, v16
	v_pk_fma_f16 v17, v28, v18, v29
	v_pk_fma_f16 v28, v28, v26, v31
	v_pk_fma_f16 v18, v16, v18, v25
	v_pk_fma_f16 v16, v16, v26, v24
	v_mul_u32_u24_sdwa v24, v19, s56 dst_sel:DWORD dst_unused:UNUSED_PAD src0_sel:WORD_0 src1_sel:DWORD
	s_waitcnt vmcnt(3)
	v_ashrrev_i32_e32 v26, v234, v30
	v_and_b32_e32 v26, 0xf0f0f0f, v26
	v_mul_u32_u24_sdwa v25, v27, s56 dst_sel:DWORD dst_unused:UNUSED_PAD src0_sel:WORD_0 src1_sel:DWORD
	v_mul_u32_u24_sdwa v19, v19, s56 dst_sel:DWORD dst_unused:UNUSED_PAD src0_sel:WORD_1 src1_sel:DWORD
	v_lshl_add_u64 v[90:91], v[90:91], 0, s[54:55]
	s_waitcnt vmcnt(2)
	v_lshrrev_b32_e32 v29, v233, v21
	v_lshlrev_b32_e32 v29, 4, v29
	v_and_or_b32 v26, v29, 16, v26
	v_lshrrev_b32_e32 v29, v235, v21
	v_lshrrev_b32_e32 v30, v236, v21
	;; [unrolled: 1-line block ×3, first 2 shown]
	v_lshlrev_b32_e32 v29, 12, v29
	v_lshlrev_b32_e32 v30, 20, v30
	;; [unrolled: 1-line block ×3, first 2 shown]
	v_and_or_b32 v29, v29, s4, v26
	v_and_b32_e32 v30, 0x100000, v30
	v_and_b32_e32 v21, 0x10000000, v21
	v_or3_b32 v21, v30, v21, v29
	v_lshrrev_b32_e32 v29, 8, v29
	v_and_b32_e32 v26, 31, v26
	v_and_b32_e32 v29, 31, v29
	v_cvt_f16_u16_e32 v26, v26
	v_cvt_f16_u16_e32 v29, v29
	v_pack_b32_f16 v26, v26, v29
	v_and_b32_sdwa v29, v21, v240 dst_sel:DWORD dst_unused:UNUSED_PAD src0_sel:WORD_1 src1_sel:DWORD
	v_cvt_f16_u16_sdwa v21, v21 dst_sel:DWORD dst_unused:UNUSED_PAD src0_sel:BYTE_3
	v_cvt_f16_u16_e32 v29, v29
	v_mul_u32_u24_sdwa v30, v20, s56 dst_sel:DWORD dst_unused:UNUSED_PAD src0_sel:WORD_0 src1_sel:DWORD
	v_mul_u32_u24_sdwa v20, v20, s56 dst_sel:DWORD dst_unused:UNUSED_PAD src0_sel:WORD_1 src1_sel:DWORD
	v_pack_b32_f16 v21, v29, v21
	v_pk_fma_f16 v26, v26, v30, v20
	v_pk_fma_f16 v20, v21, v30, v20
	;; [unrolled: 1-line block ×5, first 2 shown]
	s_waitcnt vmcnt(1)
	v_ashrrev_i32_e32 v16, v234, v38
	s_waitcnt vmcnt(0)
	v_lshrrev_b32_e32 v18, v233, v23
	v_and_b32_e32 v16, 0xf0f0f0f, v16
	v_lshlrev_b32_e32 v18, 4, v18
	v_pk_fma_f16 v21, v26, v25, v28
	v_and_or_b32 v16, v18, 16, v16
	v_lshrrev_b32_e32 v18, v235, v23
	v_lshrrev_b32_e32 v26, v236, v23
	;; [unrolled: 1-line block ×3, first 2 shown]
	v_lshlrev_b32_e32 v18, 12, v18
	v_lshlrev_b32_e32 v26, 20, v26
	;; [unrolled: 1-line block ×3, first 2 shown]
	v_and_or_b32 v18, v18, s4, v16
	v_and_b32_e32 v26, 0x100000, v26
	v_and_b32_e32 v23, 0x10000000, v23
	v_or3_b32 v23, v26, v23, v18
	v_lshrrev_b32_e32 v18, 8, v18
	v_and_b32_e32 v16, 31, v16
	v_and_b32_e32 v18, 31, v18
	v_cvt_f16_u16_e32 v16, v16
	v_cvt_f16_u16_e32 v18, v18
	v_mul_u32_u24_sdwa v26, v22, s56 dst_sel:DWORD dst_unused:UNUSED_PAD src0_sel:WORD_0 src1_sel:DWORD
	v_mul_u32_u24_sdwa v22, v22, s56 dst_sel:DWORD dst_unused:UNUSED_PAD src0_sel:WORD_1 src1_sel:DWORD
	v_pack_b32_f16 v16, v16, v18
	v_pk_fma_f16 v18, v16, v26, v22
	v_and_b32_sdwa v16, v23, v240 dst_sel:DWORD dst_unused:UNUSED_PAD src0_sel:WORD_1 src1_sel:DWORD
	v_cvt_f16_u16_sdwa v23, v23 dst_sel:DWORD dst_unused:UNUSED_PAD src0_sel:BYTE_3
	v_cvt_f16_u16_e32 v16, v16
	v_pack_b32_f16 v16, v16, v23
	v_mul_u32_u24_sdwa v25, v27, s56 dst_sel:DWORD dst_unused:UNUSED_PAD src0_sel:WORD_1 src1_sel:DWORD
	v_pk_fma_f16 v22, v16, v26, v22
	v_pk_fma_f16 v16, v18, v19, v17
	;; [unrolled: 1-line block ×5, first 2 shown]
	v_lshl_add_u64 v[92:93], v[92:93], 0, s[54:55]
	v_lshl_add_u64 v[94:95], v[94:95], 0, s[54:55]
	;; [unrolled: 1-line block ×58, first 2 shown]
	s_cmp_ge_i32 s26, s37
	v_lshl_add_u64 v[208:209], v[208:209], 0, s[54:55]
	s_cbranch_scc1 .LBB22_68
; %bb.66:                               ;   in Loop: Header=BB22_17 Depth=1
	v_mov_b32_e32 v29, v212
	v_mov_b32_e32 v28, v213
	s_branch .LBB22_17
.LBB22_67:
	v_mov_b32_e32 v212, 0xfeffffff
	v_mov_b32_e32 v213, v212
	;; [unrolled: 1-line block ×3, first 2 shown]
	s_branch .LBB22_69
.LBB22_68:
	ds_write_b128 v223, v[16:19]
.LBB22_69:
	s_cmp_eq_u64 s[24:25], 0
	s_cselect_b64 s[6:7], -1, 0
	s_cmp_lg_u32 s5, 0
	s_cselect_b64 s[8:9], -1, 0
	s_or_b64 s[6:7], s[8:9], s[6:7]
	s_nor_b64 s[0:1], s[6:7], s[0:1]
	s_and_saveexec_b64 s[8:9], s[0:1]
	s_cbranch_execz .LBB22_71
; %bb.70:
	s_ashr_i32 s37, s36, 31
	s_lshl_b64 s[0:1], s[36:37], 2
	s_add_u32 s0, s24, s0
	s_addc_u32 s1, s25, s1
	s_load_dword s4, s[0:1], 0x0
	v_cmp_eq_u32_e32 vcc, 1, v219
	s_mov_b32 s10, 0x3fb8aa3b
	v_cmp_eq_u32_e64 s[0:1], 0, v219
	v_cndmask_b32_e32 v0, v212, v213, vcc
	v_max_f32_e32 v1, v0, v0
	s_waitcnt lgkmcnt(0)
	v_max_f32_e64 v3, s4, s4
	v_max_f32_e32 v1, v3, v1
	v_sub_f32_e32 v0, v0, v1
	v_mul_f32_e32 v3, 0x3fb8aa3b, v0
	v_fma_f32 v4, v0, s10, -v3
	v_rndne_f32_e32 v5, v3
	v_fmac_f32_e32 v4, 0x32a5705f, v0
	v_sub_f32_e32 v3, v3, v5
	v_add_f32_e32 v3, v3, v4
	v_exp_f32_e32 v3, v3
	v_cvt_i32_f32_e32 v4, v5
	v_cndmask_b32_e32 v213, v213, v1, vcc
	v_cndmask_b32_e64 v212, v212, v1, s[0:1]
	v_sub_f32_e32 v1, s4, v1
	v_ldexp_f32 v3, v3, v4
	v_mul_f32_e32 v4, 0x3fb8aa3b, v1
	v_fma_f32 v6, v1, s10, -v4
	v_rndne_f32_e32 v7, v4
	v_fmac_f32_e32 v6, 0x32a5705f, v1
	v_sub_f32_e32 v4, v4, v7
	v_add_f32_e32 v4, v4, v6
	v_exp_f32_e32 v4, v4
	v_cvt_i32_f32_e32 v6, v7
	s_mov_b32 s11, 0xc2ce8ed0
	v_cmp_ngt_f32_e64 s[6:7], s11, v0
	s_mov_b32 s12, 0x42b17218
	v_mov_b32_e32 v7, 0x7f800000
	v_cndmask_b32_e64 v3, 0, v3, s[6:7]
	v_cmp_nlt_f32_e64 s[6:7], s12, v0
	v_ldexp_f32 v0, v4, v6
	v_lshl_add_u32 v2, v219, 3, v223
	v_cndmask_b32_e64 v3, v7, v3, s[6:7]
	v_cmp_ngt_f32_e64 s[6:7], s11, v1
	v_cvt_f16_f32_e32 v6, v3
	v_cndmask_b32_e32 v5, v58, v59, vcc
	v_cndmask_b32_e64 v0, 0, v0, s[6:7]
	v_cmp_nlt_f32_e64 s[6:7], s12, v1
	s_nop 1
	v_cndmask_b32_e64 v0, v7, v0, s[6:7]
	v_cmp_eq_u32_e64 s[6:7], 0, v218
	s_nop 1
	v_cndmask_b32_e64 v4, 0, v0, s[6:7]
	ds_read_b64 v[0:1], v2
	v_fmac_f32_e32 v4, v5, v3
	v_mul_u32_u24_e32 v3, 0x10001, v6
	v_cndmask_b32_e32 v59, v59, v4, vcc
	v_cndmask_b32_e64 v58, v58, v4, s[0:1]
	s_waitcnt lgkmcnt(0)
	v_pk_mul_f16 v0, v0, v3
	v_pk_mul_f16 v1, v1, v3
	ds_write_b64 v2, v[0:1]
.LBB22_71:
	s_or_b64 exec, exec, s[8:9]
	v_cmp_eq_u32_e32 vcc, 0, v219
	v_add_u32_e32 v4, 0x500, v224
	v_add_u32_e32 v10, 0x400, v224
	s_and_saveexec_b64 s[0:1], vcc
	s_cbranch_execz .LBB22_73
; %bb.72:
	v_mov_b32_e32 v0, 0xfeffffff
	v_mov_b32_e32 v1, 0
	ds_write2_b32 v10, v0, v0 offset1:32
	ds_write2_b32 v4, v1, v1 offset1:32
.LBB22_73:
	s_or_b64 exec, exec, s[0:1]
	v_cmp_eq_u32_e64 s[0:1], 0, v218
	s_waitcnt lgkmcnt(0)
	s_barrier
	s_and_saveexec_b64 s[6:7], s[0:1]
; %bb.74:
	v_lshlrev_b32_e32 v0, 2, v219
	v_add_u32_e32 v0, 0x400, v0
	ds_write2_b32 v0, v212, v213 offset1:32
; %bb.75:
	s_or_b64 exec, exec, s[6:7]
	s_cmp_lt_i32 s33, s34
	s_waitcnt lgkmcnt(0)
	s_barrier
	s_cbranch_scc1 .LBB22_77
; %bb.76:
	s_load_dword s4, s[2:3], 0xd4
	s_mul_i32 s72, s72, s34
	s_cbranch_execz .LBB22_78
	s_branch .LBB22_86
.LBB22_77:
                                        ; implicit-def: $sgpr4
	s_mul_i32 s72, s72, s34
.LBB22_78:
	v_mbcnt_hi_u32_b32 v0, -1, v226
	v_and_b32_e32 v1, 0x60, v0
	ds_read_b32 v2, v10
	v_add_u32_e32 v1, 32, v1
	v_xor_b32_e32 v3, 16, v0
	v_cmp_lt_i32_e32 vcc, v3, v1
	v_xor_b32_e32 v6, 8, v0
	v_xor_b32_e32 v8, 2, v0
	v_cndmask_b32_e32 v3, v0, v3, vcc
	v_lshlrev_b32_e32 v5, 2, v3
	s_waitcnt lgkmcnt(0)
	ds_bpermute_b32 v3, v5, v2
	v_cmp_lt_i32_e32 vcc, v6, v1
	v_max_f32_e32 v2, v2, v2
	v_xor_b32_e32 v9, 1, v0
	v_cndmask_b32_e32 v6, v0, v6, vcc
	s_waitcnt lgkmcnt(0)
	v_max_f32_e32 v3, v3, v3
	v_lshlrev_b32_e32 v7, 2, v6
	v_max_f32_e32 v2, v2, v3
	ds_bpermute_b32 v3, v7, v2
	v_xor_b32_e32 v6, 4, v0
	v_cmp_lt_i32_e32 vcc, v6, v1
	s_mov_b32 s4, 0x3fb8aa3b
	ds_read_b64 v[14:15], v223
	v_cndmask_b32_e32 v6, v0, v6, vcc
	s_waitcnt lgkmcnt(1)
	v_max_f32_e32 v3, v3, v3
	v_lshlrev_b32_e32 v6, 2, v6
	v_max_f32_e32 v2, v2, v3
	ds_bpermute_b32 v3, v6, v2
	v_cmp_lt_i32_e32 vcc, v8, v1
	v_lshlrev_b32_e32 v12, 3, v218
	v_add_u32_e32 v12, v220, v12
	v_cndmask_b32_e32 v8, v0, v8, vcc
	s_waitcnt lgkmcnt(0)
	v_max_f32_e32 v3, v3, v3
	v_lshlrev_b32_e32 v8, 2, v8
	v_max_f32_e32 v2, v2, v3
	ds_bpermute_b32 v3, v8, v2
	v_cmp_lt_i32_e32 vcc, v9, v1
	s_nop 1
	v_cndmask_b32_e32 v0, v0, v9, vcc
	v_lshlrev_b32_e32 v9, 2, v0
	s_waitcnt lgkmcnt(0)
	v_max_f32_e32 v0, v3, v3
	v_max_f32_e32 v0, v2, v0
	ds_bpermute_b32 v1, v9, v0
	s_waitcnt lgkmcnt(0)
	v_max_f32_e32 v1, v1, v1
	v_max_f32_e32 v0, v0, v1
	v_sub_f32_e32 v1, v212, v0
	v_mul_f32_e32 v2, 0x3fb8aa3b, v1
	v_fma_f32 v3, v1, s4, -v2
	v_rndne_f32_e32 v11, v2
	v_fmamk_f32 v3, v1, 0x32a5705f, v3
	v_sub_f32_e32 v2, v2, v11
	v_add_f32_e32 v2, v2, v3
	v_exp_f32_e32 v2, v2
	v_cvt_i32_f32_e32 v3, v11
	s_mov_b32 s4, 0xc2ce8ed0
	v_cmp_ngt_f32_e32 vcc, s4, v1
	s_mov_b32 s4, 0x42b17218
	v_ldexp_f32 v2, v2, v3
	v_cndmask_b32_e32 v2, 0, v2, vcc
	v_mov_b32_e32 v3, 0x7f800000
	v_cmp_nlt_f32_e32 vcc, s4, v1
	s_load_dword s4, s[2:3], 0xd4
	v_mov_b32_e32 v11, 0x500
	v_cndmask_b32_e32 v1, v3, v2, vcc
	v_mul_f32_e32 v2, v58, v1
	ds_bpermute_b32 v2, v5, v2
	v_lshl_add_u32 v11, v219, 2, v11
	s_waitcnt lgkmcnt(0)
	v_fmac_f32_e32 v2, v58, v1
	ds_bpermute_b32 v3, v7, v2
	v_cvt_f16_f32_e32 v1, v1
	s_waitcnt lgkmcnt(0)
	v_add_f32_e32 v2, v2, v3
	ds_bpermute_b32 v3, v6, v2
	v_mul_u32_u24_e32 v13, 0x10001, v1
	v_pk_mul_f16 v14, v14, v13
	v_pk_mul_f16 v15, v15, v13
	ds_write_b64 v223, v[14:15]
	ds_write_b64 v12, v[14:15]
	s_waitcnt lgkmcnt(2)
	v_add_f32_e32 v2, v2, v3
	ds_bpermute_b32 v3, v8, v2
	s_waitcnt lgkmcnt(0)
	v_add_f32_e32 v1, v2, v3
	ds_bpermute_b32 v2, v9, v1
	s_and_saveexec_b64 s[2:3], s[0:1]
	s_cbranch_execz .LBB22_80
; %bb.79:
	s_waitcnt lgkmcnt(0)
	v_add_f32_e32 v1, v1, v2
	ds_write_b32 v11, v1
.LBB22_80:
	s_or_b64 exec, exec, s[2:3]
	s_waitcnt lgkmcnt(0)
	s_barrier
	ds_read_b32 v1, v4
	ds_read_u16 v2, v222
	ds_read_u16 v13, v222 offset:256
	ds_read_u16 v16, v222 offset:512
	;; [unrolled: 1-line block ×3, first 2 shown]
	s_waitcnt lgkmcnt(4)
	ds_bpermute_b32 v3, v5, v1
	s_waitcnt lgkmcnt(4)
	v_cvt_f32_f16_e32 v2, v2
	v_mov_b32_e32 v17, 0
	v_mov_b32_e32 v14, v17
	s_cmp_eq_u32 s4, 1
	s_waitcnt lgkmcnt(0)
	v_add_f32_e32 v3, v1, v3
	ds_bpermute_b32 v15, v7, v3
	s_waitcnt lgkmcnt(0)
	v_pk_add_f32 v[2:3], v[2:3], v[14:15]
	ds_bpermute_b32 v15, v6, v3
	v_cvt_f32_f16_e32 v14, v13
	s_waitcnt lgkmcnt(0)
	v_pk_add_f32 v[2:3], v[2:3], v[14:15]
	ds_bpermute_b32 v15, v8, v3
	v_cvt_f32_f16_e32 v14, v16
	;; [unrolled: 4-line block ×3, first 2 shown]
	s_waitcnt lgkmcnt(0)
	v_pk_add_f32 v[2:3], v[2:3], v[14:15]
	s_nop 0
	v_div_scale_f32 v13, s[2:3], v3, v3, v2
	v_rcp_f32_e32 v14, v13
	v_div_scale_f32 v15, vcc, v2, v3, v2
	s_cselect_b64 s[2:3], -1, 0
	v_fma_f32 v16, -v13, v14, 1.0
	v_fmac_f32_e32 v14, v16, v14
	v_mul_f32_e32 v16, v15, v14
	s_add_i32 s6, s33, s72
	v_fma_f32 v18, -v13, v16, v15
	s_mul_i32 s8, s6, s35
	v_fmac_f32_e32 v16, v18, v14
	s_add_i32 s8, s8, s36
	v_fma_f32 v13, -v13, v16, v15
	s_mul_i32 s6, s4, s8
	v_div_fmas_f32 v13, v13, v14, v16
	s_add_i32 s6, s6, s5
	v_div_fixup_f32 v13, v13, v3, v2
	s_or_b32 s7, s33, 1
	v_lshl_or_b32 v16, s6, 7, v221
	v_cndmask_b32_e64 v2, v2, v13, s[2:3]
	s_cmp_ge_i32 s7, s34
	v_lshl_add_u64 v[14:15], v[16:17], 2, s[28:29]
	global_store_dword v[14:15], v2, off
	s_barrier
	s_cbranch_scc1 .LBB22_84
; %bb.81:
	ds_read_b32 v1, v10 offset:128
	s_mov_b32 s6, 0x3fb8aa3b
	s_mov_b32 s7, 0x42b17218
	s_waitcnt lgkmcnt(0)
	ds_bpermute_b32 v2, v5, v1
	v_max_f32_e32 v1, v1, v1
	s_waitcnt lgkmcnt(0)
	v_max_f32_e32 v2, v2, v2
	v_max_f32_e32 v1, v1, v2
	ds_bpermute_b32 v2, v7, v1
	s_waitcnt lgkmcnt(0)
	v_max_f32_e32 v2, v2, v2
	v_max_f32_e32 v1, v1, v2
	ds_bpermute_b32 v2, v6, v1
	;; [unrolled: 4-line block ×4, first 2 shown]
	s_waitcnt lgkmcnt(0)
	v_max_f32_e32 v2, v2, v2
	v_max_f32_e32 v1, v1, v2
	v_sub_f32_e32 v2, v213, v1
	v_mul_f32_e32 v10, 0x3fb8aa3b, v2
	v_fma_f32 v13, v2, s6, -v10
	v_rndne_f32_e32 v14, v10
	v_fmamk_f32 v13, v2, 0x32a5705f, v13
	v_sub_f32_e32 v10, v10, v14
	v_add_f32_e32 v10, v10, v13
	v_cvt_i32_f32_e32 v14, v14
	v_exp_f32_e32 v10, v10
	s_mov_b32 s6, 0xc2ce8ed0
	v_cmp_ngt_f32_e32 vcc, s6, v2
	v_mov_b32_e32 v13, 0x7f800000
	v_ldexp_f32 v10, v10, v14
	v_cndmask_b32_e32 v10, 0, v10, vcc
	v_cmp_nlt_f32_e32 vcc, s7, v2
	ds_read_b64 v[14:15], v223 offset:8
	s_nop 0
	v_cndmask_b32_e32 v2, v13, v10, vcc
	v_mul_f32_e32 v10, v59, v2
	ds_bpermute_b32 v10, v5, v10
	s_waitcnt lgkmcnt(0)
	v_fmac_f32_e32 v10, v59, v2
	ds_bpermute_b32 v13, v7, v10
	v_cvt_f16_f32_e32 v2, v2
	s_waitcnt lgkmcnt(0)
	v_add_f32_e32 v10, v10, v13
	ds_bpermute_b32 v13, v6, v10
	v_mul_u32_u24_e32 v16, 0x10001, v2
	v_pk_mul_f16 v14, v14, v16
	v_pk_mul_f16 v15, v15, v16
	ds_write_b64 v223, v[14:15] offset:8
	ds_write_b64 v12, v[14:15]
	s_waitcnt lgkmcnt(2)
	v_add_f32_e32 v10, v10, v13
	ds_bpermute_b32 v13, v8, v10
	s_waitcnt lgkmcnt(0)
	v_add_f32_e32 v2, v10, v13
	ds_bpermute_b32 v10, v9, v2
	s_and_saveexec_b64 s[6:7], s[0:1]
	s_cbranch_execz .LBB22_83
; %bb.82:
	s_waitcnt lgkmcnt(0)
	v_add_f32_e32 v2, v2, v10
	ds_write_b32 v11, v2 offset:128
.LBB22_83:
	s_or_b64 exec, exec, s[6:7]
	s_waitcnt lgkmcnt(0)
	s_barrier
	ds_read_b32 v2, v4 offset:128
	ds_read_u16 v4, v222
	ds_read_u16 v12, v222 offset:256
	ds_read_u16 v13, v222 offset:512
	;; [unrolled: 1-line block ×3, first 2 shown]
	s_waitcnt lgkmcnt(4)
	ds_bpermute_b32 v5, v5, v2
	s_waitcnt lgkmcnt(4)
	v_cvt_f32_f16_e32 v4, v4
	s_add_i32 s8, s8, s35
	s_mul_i32 s0, s4, s8
	s_add_i32 s0, s0, s5
	s_waitcnt lgkmcnt(0)
	v_add_f32_e32 v5, v2, v5
	ds_bpermute_b32 v11, v7, v5
	v_mov_b32_e32 v7, 0
	v_mov_b32_e32 v10, v7
	s_waitcnt lgkmcnt(0)
	v_pk_add_f32 v[4:5], v[4:5], v[10:11]
	ds_bpermute_b32 v11, v6, v5
	v_cvt_f32_f16_e32 v10, v12
	v_lshl_or_b32 v6, s0, 7, v221
	s_waitcnt lgkmcnt(0)
	v_pk_add_f32 v[4:5], v[4:5], v[10:11]
	ds_bpermute_b32 v11, v8, v5
	v_cvt_f32_f16_e32 v10, v13
	v_cvt_f32_f16_e32 v8, v14
	s_waitcnt lgkmcnt(0)
	v_pk_add_f32 v[4:5], v[4:5], v[10:11]
	ds_bpermute_b32 v9, v9, v5
	s_waitcnt lgkmcnt(0)
	v_pk_add_f32 v[58:59], v[4:5], v[8:9]
	s_nop 0
	v_div_scale_f32 v2, s[0:1], v59, v59, v58
	v_rcp_f32_e32 v8, v2
	v_lshl_add_u64 v[4:5], v[6:7], 2, s[28:29]
	v_div_scale_f32 v6, vcc, v58, v59, v58
	v_fma_f32 v7, -v2, v8, 1.0
	v_fmac_f32_e32 v8, v7, v8
	v_mul_f32_e32 v7, v6, v8
	v_fma_f32 v9, -v2, v7, v6
	v_fmac_f32_e32 v7, v9, v8
	v_fma_f32 v2, -v2, v7, v6
	v_div_fmas_f32 v2, v2, v8, v7
	v_div_fixup_f32 v2, v2, v59, v58
	v_cndmask_b32_e64 v2, v58, v2, s[2:3]
	global_store_dword v[4:5], v2, off
	s_branch .LBB22_85
.LBB22_84:
	v_mov_b32_e32 v1, v213
.LBB22_85:
	v_mov_b32_e32 v58, v3
	v_mov_b64_e32 v[212:213], v[0:1]
.LBB22_86:
	s_waitcnt lgkmcnt(0)
	s_cmp_lg_u32 s4, 1
	s_cselect_b64 s[0:1], -1, 0
	v_cmp_gt_u32_e32 vcc, 2, v221
	v_or_b32_e32 v0, s33, v218
	s_and_b64 s[0:1], s[0:1], vcc
	v_cmp_gt_i32_e32 vcc, s34, v0
	s_and_b64 s[0:1], s[0:1], vcc
	s_and_saveexec_b64 s[2:3], s[0:1]
	s_cbranch_execz .LBB22_88
; %bb.87:
	v_add_u32_e32 v0, s72, v0
	v_mul_lo_u32 v0, v0, s35
	v_add_u32_e32 v0, s36, v0
	v_mul_lo_u32 v0, s4, v0
	v_mov_b32_e32 v2, s30
	v_mov_b32_e32 v3, s31
	v_cmp_eq_u32_e32 vcc, 1, v221
	v_add_u32_e32 v0, s5, v0
	v_mov_b32_e32 v1, 0
	v_cndmask_b32_e32 v4, v212, v213, vcc
	v_cndmask_b32_e32 v5, v58, v59, vcc
	v_lshl_add_u64 v[0:1], v[0:1], 3, v[2:3]
	global_store_dwordx2 v[0:1], v[4:5], off
.LBB22_88:
	s_endpgm
	.section	.rodata,"a",@progbits
	.p2align	6, 0x0
	.amdhsa_kernel _ZL18flash_attn_ext_vecILi128ELi2EL9ggml_type7ELS0_7ELb1EEvPKcS2_S2_S2_S2_PKiPfP15HIP_vector_typeIfLj2EEffffjfiS6_IjLj3EEiiiiiiiiiiiliiliiiiil
		.amdhsa_group_segment_fixed_size 3584
		.amdhsa_private_segment_fixed_size 0
		.amdhsa_kernarg_size 464
		.amdhsa_user_sgpr_count 4
		.amdhsa_user_sgpr_dispatch_ptr 1
		.amdhsa_user_sgpr_queue_ptr 0
		.amdhsa_user_sgpr_kernarg_segment_ptr 1
		.amdhsa_user_sgpr_dispatch_id 0
		.amdhsa_user_sgpr_kernarg_preload_length 0
		.amdhsa_user_sgpr_kernarg_preload_offset 0
		.amdhsa_user_sgpr_private_segment_size 0
		.amdhsa_uses_dynamic_stack 0
		.amdhsa_enable_private_segment 0
		.amdhsa_system_sgpr_workgroup_id_x 1
		.amdhsa_system_sgpr_workgroup_id_y 1
		.amdhsa_system_sgpr_workgroup_id_z 1
		.amdhsa_system_sgpr_workgroup_info 0
		.amdhsa_system_vgpr_workitem_id 2
		.amdhsa_next_free_vgpr 254
		.amdhsa_next_free_sgpr 73
		.amdhsa_accum_offset 256
		.amdhsa_reserve_vcc 1
		.amdhsa_float_round_mode_32 0
		.amdhsa_float_round_mode_16_64 0
		.amdhsa_float_denorm_mode_32 3
		.amdhsa_float_denorm_mode_16_64 3
		.amdhsa_dx10_clamp 1
		.amdhsa_ieee_mode 1
		.amdhsa_fp16_overflow 0
		.amdhsa_tg_split 0
		.amdhsa_exception_fp_ieee_invalid_op 0
		.amdhsa_exception_fp_denorm_src 0
		.amdhsa_exception_fp_ieee_div_zero 0
		.amdhsa_exception_fp_ieee_overflow 0
		.amdhsa_exception_fp_ieee_underflow 0
		.amdhsa_exception_fp_ieee_inexact 0
		.amdhsa_exception_int_div_zero 0
	.end_amdhsa_kernel
	.section	.text._ZL18flash_attn_ext_vecILi128ELi2EL9ggml_type7ELS0_7ELb1EEvPKcS2_S2_S2_S2_PKiPfP15HIP_vector_typeIfLj2EEffffjfiS6_IjLj3EEiiiiiiiiiiiliiliiiiil,"axG",@progbits,_ZL18flash_attn_ext_vecILi128ELi2EL9ggml_type7ELS0_7ELb1EEvPKcS2_S2_S2_S2_PKiPfP15HIP_vector_typeIfLj2EEffffjfiS6_IjLj3EEiiiiiiiiiiiliiliiiiil,comdat
.Lfunc_end22:
	.size	_ZL18flash_attn_ext_vecILi128ELi2EL9ggml_type7ELS0_7ELb1EEvPKcS2_S2_S2_S2_PKiPfP15HIP_vector_typeIfLj2EEffffjfiS6_IjLj3EEiiiiiiiiiiiliiliiiiil, .Lfunc_end22-_ZL18flash_attn_ext_vecILi128ELi2EL9ggml_type7ELS0_7ELb1EEvPKcS2_S2_S2_S2_PKiPfP15HIP_vector_typeIfLj2EEffffjfiS6_IjLj3EEiiiiiiiiiiiliiliiiiil
                                        ; -- End function
	.set _ZL18flash_attn_ext_vecILi128ELi2EL9ggml_type7ELS0_7ELb1EEvPKcS2_S2_S2_S2_PKiPfP15HIP_vector_typeIfLj2EEffffjfiS6_IjLj3EEiiiiiiiiiiiliiliiiiil.num_vgpr, 254
	.set _ZL18flash_attn_ext_vecILi128ELi2EL9ggml_type7ELS0_7ELb1EEvPKcS2_S2_S2_S2_PKiPfP15HIP_vector_typeIfLj2EEffffjfiS6_IjLj3EEiiiiiiiiiiiliiliiiiil.num_agpr, 0
	.set _ZL18flash_attn_ext_vecILi128ELi2EL9ggml_type7ELS0_7ELb1EEvPKcS2_S2_S2_S2_PKiPfP15HIP_vector_typeIfLj2EEffffjfiS6_IjLj3EEiiiiiiiiiiiliiliiiiil.numbered_sgpr, 73
	.set _ZL18flash_attn_ext_vecILi128ELi2EL9ggml_type7ELS0_7ELb1EEvPKcS2_S2_S2_S2_PKiPfP15HIP_vector_typeIfLj2EEffffjfiS6_IjLj3EEiiiiiiiiiiiliiliiiiil.num_named_barrier, 0
	.set _ZL18flash_attn_ext_vecILi128ELi2EL9ggml_type7ELS0_7ELb1EEvPKcS2_S2_S2_S2_PKiPfP15HIP_vector_typeIfLj2EEffffjfiS6_IjLj3EEiiiiiiiiiiiliiliiiiil.private_seg_size, 0
	.set _ZL18flash_attn_ext_vecILi128ELi2EL9ggml_type7ELS0_7ELb1EEvPKcS2_S2_S2_S2_PKiPfP15HIP_vector_typeIfLj2EEffffjfiS6_IjLj3EEiiiiiiiiiiiliiliiiiil.uses_vcc, 1
	.set _ZL18flash_attn_ext_vecILi128ELi2EL9ggml_type7ELS0_7ELb1EEvPKcS2_S2_S2_S2_PKiPfP15HIP_vector_typeIfLj2EEffffjfiS6_IjLj3EEiiiiiiiiiiiliiliiiiil.uses_flat_scratch, 0
	.set _ZL18flash_attn_ext_vecILi128ELi2EL9ggml_type7ELS0_7ELb1EEvPKcS2_S2_S2_S2_PKiPfP15HIP_vector_typeIfLj2EEffffjfiS6_IjLj3EEiiiiiiiiiiiliiliiiiil.has_dyn_sized_stack, 0
	.set _ZL18flash_attn_ext_vecILi128ELi2EL9ggml_type7ELS0_7ELb1EEvPKcS2_S2_S2_S2_PKiPfP15HIP_vector_typeIfLj2EEffffjfiS6_IjLj3EEiiiiiiiiiiiliiliiiiil.has_recursion, 0
	.set _ZL18flash_attn_ext_vecILi128ELi2EL9ggml_type7ELS0_7ELb1EEvPKcS2_S2_S2_S2_PKiPfP15HIP_vector_typeIfLj2EEffffjfiS6_IjLj3EEiiiiiiiiiiiliiliiiiil.has_indirect_call, 0
	.section	.AMDGPU.csdata,"",@progbits
; Kernel info:
; codeLenInByte = 24380
; TotalNumSgprs: 79
; NumVgprs: 254
; NumAgprs: 0
; TotalNumVgprs: 254
; ScratchSize: 0
; MemoryBound: 0
; FloatMode: 240
; IeeeMode: 1
; LDSByteSize: 3584 bytes/workgroup (compile time only)
; SGPRBlocks: 9
; VGPRBlocks: 31
; NumSGPRsForWavesPerEU: 79
; NumVGPRsForWavesPerEU: 254
; AccumOffset: 256
; Occupancy: 2
; WaveLimiterHint : 0
; COMPUTE_PGM_RSRC2:SCRATCH_EN: 0
; COMPUTE_PGM_RSRC2:USER_SGPR: 4
; COMPUTE_PGM_RSRC2:TRAP_HANDLER: 0
; COMPUTE_PGM_RSRC2:TGID_X_EN: 1
; COMPUTE_PGM_RSRC2:TGID_Y_EN: 1
; COMPUTE_PGM_RSRC2:TGID_Z_EN: 1
; COMPUTE_PGM_RSRC2:TIDIG_COMP_CNT: 2
; COMPUTE_PGM_RSRC3_GFX90A:ACCUM_OFFSET: 63
; COMPUTE_PGM_RSRC3_GFX90A:TG_SPLIT: 0
	.section	.text._ZL18flash_attn_ext_vecILi256ELi1EL9ggml_type7ELS0_7ELb0EEvPKcS2_S2_S2_S2_PKiPfP15HIP_vector_typeIfLj2EEffffjfiS6_IjLj3EEiiiiiiiiiiiliiliiiiil,"axG",@progbits,_ZL18flash_attn_ext_vecILi256ELi1EL9ggml_type7ELS0_7ELb0EEvPKcS2_S2_S2_S2_PKiPfP15HIP_vector_typeIfLj2EEffffjfiS6_IjLj3EEiiiiiiiiiiiliiliiiiil,comdat
	.globl	_ZL18flash_attn_ext_vecILi256ELi1EL9ggml_type7ELS0_7ELb0EEvPKcS2_S2_S2_S2_PKiPfP15HIP_vector_typeIfLj2EEffffjfiS6_IjLj3EEiiiiiiiiiiiliiliiiiil ; -- Begin function _ZL18flash_attn_ext_vecILi256ELi1EL9ggml_type7ELS0_7ELb0EEvPKcS2_S2_S2_S2_PKiPfP15HIP_vector_typeIfLj2EEffffjfiS6_IjLj3EEiiiiiiiiiiiliiliiiiil
	.p2align	8
	.type	_ZL18flash_attn_ext_vecILi256ELi1EL9ggml_type7ELS0_7ELb0EEvPKcS2_S2_S2_S2_PKiPfP15HIP_vector_typeIfLj2EEffffjfiS6_IjLj3EEiiiiiiiiiiiliiliiiiil,@function
_ZL18flash_attn_ext_vecILi256ELi1EL9ggml_type7ELS0_7ELb0EEvPKcS2_S2_S2_S2_PKiPfP15HIP_vector_typeIfLj2EEffffjfiS6_IjLj3EEiiiiiiiiiiiliiliiiiil: ; @_ZL18flash_attn_ext_vecILi256ELi1EL9ggml_type7ELS0_7ELb0EEvPKcS2_S2_S2_S2_PKiPfP15HIP_vector_typeIfLj2EEffffjfiS6_IjLj3EEiiiiiiiiiiiliiliiiiil
; %bb.0:
	s_load_dwordx2 s[34:35], s[0:1], 0x64
	s_load_dwordx2 s[42:43], s[0:1], 0x80
	;; [unrolled: 1-line block ×3, first 2 shown]
	s_load_dwordx4 s[8:11], s[0:1], 0x40
	v_mov_b32_e32 v132, 1.0
	s_waitcnt lgkmcnt(0)
	v_cvt_f32_u32_e32 v1, s35
	s_sub_i32 s5, 0, s35
	v_rcp_iflag_f32_e32 v1, v1
	s_nop 0
	v_mul_f32_e32 v1, 0x4f7ffffe, v1
	v_cvt_u32_f32_e32 v1, v1
	s_nop 0
	v_readfirstlane_b32 s6, v1
	s_mul_i32 s5, s5, s6
	s_mul_hi_u32 s5, s6, s5
	s_add_i32 s6, s6, s5
	s_mul_hi_u32 s5, s4, s6
	s_mul_i32 s6, s5, s35
	s_sub_i32 s6, s4, s6
	s_add_i32 s7, s5, 1
	s_sub_i32 s14, s6, s35
	s_cmp_ge_u32 s6, s35
	s_cselect_b32 s5, s7, s5
	s_cselect_b32 s6, s14, s6
	s_add_i32 s7, s5, 1
	s_cmp_ge_u32 s6, s35
	s_cselect_b32 s33, s7, s5
	s_abs_i32 s6, s43
	v_cvt_f32_u32_e32 v1, s6
	s_mul_i32 s15, s33, s35
	s_sub_i32 s16, 0, s6
	s_sub_i32 s40, s4, s15
	v_rcp_iflag_f32_e32 v1, v1
	s_abs_i32 s14, s35
	s_xor_b32 s7, s35, s43
	s_ashr_i32 s7, s7, 31
	v_mul_f32_e32 v1, 0x4f7ffffe, v1
	v_cvt_u32_f32_e32 v1, v1
	s_load_dword s5, s[0:1], 0x50
	s_mov_b32 s36, s8
	s_mov_b32 s37, s9
	v_readfirstlane_b32 s4, v1
	s_mul_i32 s16, s16, s4
	s_mul_hi_u32 s15, s4, s16
	s_add_i32 s4, s4, s15
	s_mul_hi_u32 s4, s14, s4
	s_mul_i32 s15, s4, s6
	s_sub_i32 s14, s14, s15
	s_add_i32 s16, s4, 1
	s_sub_i32 s15, s14, s6
	s_cmp_ge_u32 s14, s6
	s_cselect_b32 s4, s16, s4
	s_cselect_b32 s14, s15, s14
	s_add_i32 s15, s4, 1
	s_cmp_ge_u32 s14, s6
	s_cselect_b32 s4, s15, s4
	s_xor_b32 s4, s4, s7
	s_sub_i32 s38, s4, s7
	s_abs_i32 s46, s38
	v_cvt_f32_u32_e32 v1, s46
	s_abs_i32 s12, s12
	v_cvt_f32_u32_e32 v2, s12
	s_sub_i32 s6, 0, s46
	v_rcp_iflag_f32_e32 v1, v1
	s_sub_i32 s4, 0, s12
	v_rcp_iflag_f32_e32 v2, v2
	s_abs_i32 s47, s40
	v_mul_f32_e32 v1, 0x4f7ffffe, v1
	v_cvt_u32_f32_e32 v1, v1
	v_mul_f32_e32 v2, 0x4f7ffffe, v2
	v_cvt_u32_f32_e32 v2, v2
	s_abs_i32 s43, s33
	v_readfirstlane_b32 s14, v1
	s_mul_i32 s6, s6, s14
	v_readfirstlane_b32 s15, v2
	s_mul_hi_u32 s6, s14, s6
	s_mul_i32 s4, s4, s15
	s_add_i32 s14, s14, s6
	s_mul_hi_u32 s4, s15, s4
	v_cmp_le_f32_e64 s[6:7], s9, 0
	s_add_i32 s15, s15, s4
	s_and_b64 vcc, exec, s[6:7]
	s_cbranch_vccnz .LBB23_2
; %bb.1:
	s_waitcnt lgkmcnt(0)
	v_mov_b32_e32 v1, s5
	v_sub_co_u32_e32 v1, vcc, s40, v1
	v_mov_b32_e32 v2, s11
	v_mov_b32_e32 v3, s10
	s_add_i32 s4, s40, 1
	v_lshlrev_b32_e32 v1, 1, v1
	v_cndmask_b32_e32 v2, v2, v3, vcc
	v_or_b32_e32 v1, 1, v1
	v_mov_b32_e32 v3, s4
	v_cndmask_b32_e32 v1, v1, v3, vcc
	v_cvt_f32_i32_e32 v1, v1
	v_cmp_neq_f32_e32 vcc, 1.0, v2
	s_mov_b32 s4, 0x3f2aaaab
	s_movk_i32 s6, 0x204
	v_cndmask_b32_e32 v1, 1.0, v1, vcc
	v_cmp_neq_f32_e32 vcc, 0, v1
	s_mov_b32 s5, 0x42b17218
	s_mov_b32 s7, 0x3fb8aa3b
	v_cndmask_b32_e32 v18, 1.0, v2, vcc
	v_frexp_mant_f32_e64 v2, |v18|
	v_cmp_gt_f32_e32 vcc, s4, v2
	s_mov_b32 s4, 0x3f317218
	s_brev_b32 s9, -2
	v_cndmask_b32_e64 v3, 1.0, 2.0, vcc
	v_mul_f32_e32 v2, v2, v3
	v_add_f32_e32 v5, 1.0, v2
	v_rcp_f32_e32 v10, v5
	v_add_f32_e32 v3, -1.0, v5
	v_sub_f32_e32 v7, v2, v3
	v_add_f32_e32 v3, -1.0, v2
	v_mul_f32_e32 v11, v3, v10
	v_mul_f32_e32 v4, v5, v11
	v_fma_f32 v6, v11, v5, -v4
	v_fmac_f32_e32 v6, v11, v7
	v_add_f32_e32 v2, v4, v6
	v_sub_f32_e32 v5, v3, v2
	v_pk_add_f32 v[8:9], v[2:3], v[4:5] neg_lo:[0,1] neg_hi:[0,1]
	v_mov_b32_e32 v7, v2
	v_pk_add_f32 v[2:3], v[8:9], v[6:7] neg_lo:[0,1] neg_hi:[0,1]
	v_mov_b32_e32 v6, 0x3e91f4c4
	v_add_f32_e32 v2, v2, v3
	v_add_f32_e32 v2, v5, v2
	v_mul_f32_e32 v3, v10, v2
	v_add_f32_e32 v2, v11, v3
	v_sub_f32_e32 v4, v2, v11
	v_sub_f32_e32 v12, v3, v4
	v_mul_f32_e32 v3, v2, v2
	v_fma_f32 v5, v2, v2, -v3
	v_add_f32_e32 v4, v12, v12
	v_fmac_f32_e32 v5, v2, v4
	v_add_f32_e32 v4, v3, v5
	v_fmac_f32_e32 v6, 0x3e76c4e1, v4
	v_fmaak_f32 v6, v4, v6, 0x3ecccdef
	v_sub_f32_e32 v3, v4, v3
	v_sub_f32_e32 v13, v5, v3
	v_mul_f32_e32 v3, v4, v6
	v_fma_f32 v5, v4, v6, -v3
	v_fmac_f32_e32 v5, v13, v6
	v_add_f32_e32 v6, v3, v5
	v_add_f32_e32 v7, 0x3f2aaaaa, v6
	v_sub_f32_e32 v3, v6, v3
	v_sub_f32_e32 v3, v5, v3
	v_add_f32_e32 v5, 0xbf2aaaaa, v7
	v_add_f32_e32 v3, 0x31739010, v3
	v_sub_f32_e32 v5, v6, v5
	v_pk_mul_f32 v[8:9], v[2:3], v[4:5]
	v_pk_add_f32 v[10:11], v[2:3], v[4:5]
	v_fma_f32 v6, v4, v2, -v8
	v_fmac_f32_e32 v6, v4, v12
	v_mov_b32_e32 v9, v11
	v_fmac_f32_e32 v6, v13, v2
	v_pk_add_f32 v[4:5], v[8:9], v[6:7]
	v_ldexp_f32 v14, v12, 1
	v_sub_f32_e32 v3, v4, v8
	v_sub_f32_e32 v3, v6, v3
	;; [unrolled: 1-line block ×3, first 2 shown]
	v_add_f32_e32 v9, v11, v6
	v_pk_mul_f32 v[6:7], v[4:5], v[4:5] op_sel:[0,1] op_sel_hi:[1,0]
	v_cvt_f64_f32_e64 v[10:11], |v18|
	v_frexp_exp_i32_f64_e32 v7, v[10:11]
	v_subbrev_co_u32_e32 v7, vcc, 0, v7, vcc
	v_cvt_f32_i32_e32 v7, v7
	v_fma_f32 v8, v4, v5, -v6
	v_fmac_f32_e32 v8, v4, v9
	v_fmac_f32_e32 v8, v3, v5
	v_mul_f32_e32 v4, 0x3f317218, v7
	v_fma_f32 v3, v7, s4, -v4
	v_fmamk_f32 v10, v7, 0xb102e308, v3
	v_ldexp_f32 v11, v2, 1
	v_add_f32_e32 v5, v6, v8
	v_pk_add_f32 v[2:3], v[4:5], v[10:11]
	v_mov_b32_e32 v12, v5
	v_mov_b32_e32 v13, v3
	;; [unrolled: 1-line block ×3, first 2 shown]
	v_pk_add_f32 v[6:7], v[12:13], v[6:7] neg_lo:[0,1] neg_hi:[0,1]
	v_mov_b32_e32 v9, v5
	v_pk_add_f32 v[6:7], v[8:9], v[6:7] neg_lo:[0,1] neg_hi:[0,1]
	v_mov_b32_e32 v11, v2
	v_add_f32_e32 v5, v14, v6
	v_add_f32_e32 v5, v5, v7
	v_pk_add_f32 v[6:7], v[2:3], v[4:5] neg_lo:[0,1] neg_hi:[0,1]
	v_pk_add_f32 v[8:9], v[2:3], v[4:5]
	v_mov_b32_e32 v16, v3
	v_mov_b32_e32 v7, v9
	v_pk_add_f32 v[12:13], v[10:11], v[6:7] neg_lo:[0,1] neg_hi:[0,1]
	v_pk_add_f32 v[6:7], v[10:11], v[6:7]
	v_mov_b32_e32 v4, v5
	v_pk_add_f32 v[10:11], v[6:7], v[2:3] op_sel:[1,0] op_sel_hi:[0,1] neg_lo:[0,1] neg_hi:[0,1]
	v_pk_add_f32 v[14:15], v[8:9], v[10:11] op_sel_hi:[1,0] neg_lo:[0,1] neg_hi:[0,1]
	v_mov_b32_e32 v8, v9
	v_mov_b32_e32 v9, v7
	;; [unrolled: 1-line block ×3, first 2 shown]
	v_pk_add_f32 v[8:9], v[8:9], v[16:17] neg_lo:[0,1] neg_hi:[0,1]
	v_mov_b32_e32 v5, v2
	v_pk_add_f32 v[2:3], v[4:5], v[8:9] neg_lo:[0,1] neg_hi:[0,1]
	v_mov_b32_e32 v14, v12
	v_pk_add_f32 v[4:5], v[14:15], v[2:3]
	v_mov_b32_e32 v13, v7
	v_pk_add_f32 v[8:9], v[4:5], v[4:5] op_sel:[0,1] op_sel_hi:[1,0]
	s_mov_b32 s4, 0x7f800000
	v_pk_add_f32 v[6:7], v[6:7], v[8:9] op_sel:[1,0] op_sel_hi:[0,1]
	v_mov_b32_e32 v5, v6
	v_pk_add_f32 v[10:11], v[4:5], v[12:13] neg_lo:[0,1] neg_hi:[0,1]
	v_mov_b32_e32 v3, v8
	v_sub_f32_e32 v4, v4, v10
	v_pk_add_f32 v[2:3], v[2:3], v[10:11] neg_lo:[0,1] neg_hi:[0,1]
	v_sub_f32_e32 v4, v12, v4
	v_add_f32_e32 v2, v2, v4
	v_add_f32_e32 v2, v2, v3
	;; [unrolled: 1-line block ×3, first 2 shown]
	v_sub_f32_e32 v4, v3, v6
	v_sub_f32_e32 v2, v2, v4
	v_mul_f32_e32 v4, v1, v3
	v_fma_f32 v3, v1, v3, -v4
	v_fmac_f32_e32 v3, v1, v2
	v_add_f32_e32 v2, v4, v3
	v_cmp_class_f32_e64 vcc, v4, s6
	v_sub_f32_e32 v5, v2, v4
	v_sub_f32_e32 v3, v3, v5
	v_cndmask_b32_e32 v2, v2, v4, vcc
	v_mov_b32_e32 v4, 0x37000000
	v_cmp_eq_f32_e32 vcc, s5, v2
	v_cmp_class_f32_e64 s[10:11], v18, s6
	s_nop 0
	v_cndmask_b32_e32 v4, 0, v4, vcc
	v_sub_f32_e32 v5, v2, v4
	v_mul_f32_e32 v6, 0x3fb8aa3b, v5
	v_fma_f32 v7, v5, s7, -v6
	v_rndne_f32_e32 v8, v6
	v_fmamk_f32 v7, v5, 0x32a5705f, v7
	v_sub_f32_e32 v6, v6, v8
	v_add_f32_e32 v6, v6, v7
	v_exp_f32_e32 v6, v6
	v_cvt_i32_f32_e32 v7, v8
	v_cmp_neq_f32_e64 vcc, |v2|, s4
	s_mov_b32 s4, 0xc2ce8ed0
	s_nop 0
	v_cndmask_b32_e32 v2, 0, v3, vcc
	v_ldexp_f32 v3, v6, v7
	v_cmp_ngt_f32_e32 vcc, s4, v5
	v_add_f32_e32 v2, v4, v2
	v_mov_b32_e32 v4, 0x7f800000
	v_cndmask_b32_e32 v3, 0, v3, vcc
	v_cmp_nlt_f32_e32 vcc, s5, v5
	v_mov_b32_e32 v5, 0x7fc00000
	s_nop 0
	v_cndmask_b32_e32 v3, v4, v3, vcc
	v_fma_f32 v2, v3, v2, v3
	v_cmp_class_f32_e64 vcc, v3, s6
	v_cmp_gt_f32_e64 s[6:7], 0, v1
	s_nop 0
	v_cndmask_b32_e32 v2, v2, v3, vcc
	v_trunc_f32_e32 v3, v1
	v_cmp_eq_f32_e32 vcc, v3, v1
	v_mul_f32_e32 v3, 0.5, v1
	v_trunc_f32_e32 v6, v3
	v_cmp_neq_f32_e64 s[4:5], v6, v3
	s_and_b64 s[4:5], vcc, s[4:5]
	s_nop 0
	v_cndmask_b32_e64 v3, 1.0, v18, s[4:5]
	v_bfi_b32 v2, s9, v2, v3
	v_cndmask_b32_e32 v3, v5, v2, vcc
	v_cmp_gt_f32_e32 vcc, 0, v18
	s_nop 1
	v_cndmask_b32_e32 v2, v2, v3, vcc
	v_cmp_eq_f32_e32 vcc, 0, v18
	s_xor_b64 s[6:7], s[6:7], vcc
	v_cndmask_b32_e64 v1, v4, 0, s[6:7]
	v_cndmask_b32_e64 v3, 0, v18, s[4:5]
	v_bfi_b32 v1, s9, v1, v3
	s_or_b64 vcc, vcc, s[10:11]
	v_cndmask_b32_e32 v1, v2, v1, vcc
	v_cmp_o_f32_e32 vcc, v18, v18
	s_nop 1
	v_cndmask_b32_e32 v132, v5, v1, vcc
.LBB23_2:
	s_load_dwordx16 s[16:31], s[0:1], 0x0
	v_bfe_u32 v51, v0, 10, 10
	s_mul_hi_u32 s49, s47, s14
	s_mul_hi_u32 s48, s43, s15
	v_and_b32_e32 v129, 0x3ff, v0
	v_cmp_eq_u32_e64 s[14:15], 0, v51
	v_mbcnt_lo_u32_b32 v131, -1, 0
	s_and_saveexec_b64 s[6:7], s[14:15]
	s_cbranch_execz .LBB23_11
; %bb.3:
	s_load_dwordx4 s[52:55], s[0:1], 0x70
	v_lshlrev_b32_e32 v0, 4, v129
	v_mbcnt_hi_u32_b32 v1, -1, v131
	v_and_b32_e32 v2, 0x60, v1
	v_xor_b32_e32 v3, 4, v1
	s_waitcnt lgkmcnt(0)
	s_mul_i32 s4, s33, s54
	s_mul_i32 s9, s52, s2
	;; [unrolled: 1-line block ×3, first 2 shown]
	s_add_i32 s4, s4, s9
	s_add_i32 s4, s4, s5
	s_ashr_i32 s5, s4, 31
	s_add_u32 s4, s16, s4
	s_addc_u32 s5, s17, s5
	global_load_dwordx4 v[12:15], v0, s[4:5]
	v_add_u32_e32 v8, 32, v2
	v_xor_b32_e32 v4, 2, v1
	v_cmp_lt_i32_e32 vcc, v3, v8
	v_xor_b32_e32 v5, 1, v1
	s_mov_b32 s16, 0x42fe0000
	v_cndmask_b32_e32 v2, v1, v3, vcc
	v_cmp_lt_i32_e32 vcc, v4, v8
	v_lshlrev_b32_e32 v7, 2, v2
	s_mov_b32 s9, s8
	v_cndmask_b32_e32 v3, v1, v4, vcc
	v_lshlrev_b32_e32 v6, 2, v3
	v_cmp_lt_i32_e32 vcc, v5, v8
	s_waitcnt vmcnt(0)
	v_mov_b32_e32 v2, v15
	v_mov_b32_e32 v3, v13
	v_mul_f32_e32 v11, s8, v12
	v_pk_mul_f32 v[2:3], s[36:37], v[2:3] op_sel_hi:[0,1]
	v_mul_f32_e32 v10, s8, v14
	v_max_f32_e64 v4, |v11|, |v3|
	v_max3_f32 v4, v4, |v10|, |v2|
	ds_bpermute_b32 v9, v7, v4
	v_fma_f32 v12, s8, v12, v3
	v_fmac_f32_e32 v12, s8, v14
	v_add_f32_e32 v12, v12, v2
	ds_bpermute_b32 v13, v7, v12
	s_waitcnt lgkmcnt(1)
	v_max_f32_e32 v9, v9, v9
	v_max_f32_e32 v4, v4, v9
	ds_bpermute_b32 v9, v6, v4
	v_cndmask_b32_e32 v1, v1, v5, vcc
	v_lshlrev_b32_e32 v8, 2, v1
	s_waitcnt lgkmcnt(1)
	v_add_f32_e32 v5, v12, v13
	ds_bpermute_b32 v12, v6, v5
	s_waitcnt lgkmcnt(1)
	v_max_f32_e32 v1, v9, v9
	v_max_f32_e32 v4, v4, v1
	ds_bpermute_b32 v9, v8, v4
	v_mov_b32_e32 v1, 0
	s_waitcnt lgkmcnt(1)
	v_add_f32_e32 v5, v5, v12
	s_waitcnt lgkmcnt(0)
	v_max_f32_e32 v9, v9, v9
	v_max_f32_e32 v4, v4, v9
	v_div_scale_f32 v12, s[10:11], s16, s16, v4
	v_rcp_f32_e32 v13, v12
	v_div_scale_f32 v14, vcc, v4, s16, v4
	ds_bpermute_b32 v9, v8, v5
	v_fma_f32 v15, -v12, v13, 1.0
	v_fmac_f32_e32 v13, v15, v13
	v_mul_f32_e32 v15, v14, v13
	v_fma_f32 v16, -v12, v15, v14
	v_fmac_f32_e32 v15, v16, v13
	v_fma_f32 v12, -v12, v15, v14
	v_div_fmas_f32 v12, v12, v13, v15
	v_div_fixup_f32 v4, v12, s16, v4
	v_cmp_neq_f32_e32 vcc, 0, v4
	v_mov_b32_e32 v12, v1
	s_and_saveexec_b64 s[10:11], vcc
	s_cbranch_execz .LBB23_5
; %bb.4:
	v_div_scale_f32 v12, s[16:17], v4, v4, v11
	v_rcp_f32_e32 v13, v12
	v_div_scale_f32 v14, vcc, v11, v4, v11
	s_brev_b32 s36, -2
	v_fma_f32 v15, -v12, v13, 1.0
	v_fmac_f32_e32 v13, v15, v13
	v_mul_f32_e32 v15, v14, v13
	v_fma_f32 v16, -v12, v15, v14
	v_fmac_f32_e32 v15, v16, v13
	v_fma_f32 v12, -v12, v15, v14
	v_div_fmas_f32 v12, v12, v13, v15
	v_div_fixup_f32 v11, v12, v4, v11
	v_trunc_f32_e32 v12, v11
	v_sub_f32_e32 v13, v11, v12
	v_cmp_ge_f32_e64 s[16:17], |v13|, 0.5
	s_nop 1
	v_cndmask_b32_e64 v13, 0, 1.0, s[16:17]
	v_div_scale_f32 v14, s[16:17], v4, v4, v2
	v_rcp_f32_e32 v15, v14
	v_bfi_b32 v11, s36, v13, v11
	v_add_f32_e32 v11, v12, v11
	v_cvt_i32_f32_e32 v11, v11
	v_fma_f32 v12, -v14, v15, 1.0
	v_fmac_f32_e32 v15, v12, v15
	v_div_scale_f32 v12, vcc, v2, v4, v2
	v_mul_f32_e32 v13, v12, v15
	v_fma_f32 v16, -v14, v13, v12
	v_fmac_f32_e32 v13, v16, v15
	v_div_scale_f32 v16, s[16:17], v4, v4, v3
	v_rcp_f32_e32 v17, v16
	v_fma_f32 v12, -v14, v13, v12
	v_div_fmas_f32 v12, v12, v15, v13
	v_div_fixup_f32 v2, v12, v4, v2
	v_fma_f32 v13, -v16, v17, 1.0
	v_fmac_f32_e32 v17, v13, v17
	v_div_scale_f32 v13, vcc, v3, v4, v3
	v_mul_f32_e32 v14, v13, v17
	v_fma_f32 v15, -v16, v14, v13
	v_fmac_f32_e32 v14, v15, v17
	v_div_scale_f32 v15, s[16:17], v4, v4, v10
	v_rcp_f32_e32 v18, v15
	v_fma_f32 v13, -v16, v14, v13
	v_div_fmas_f32 v13, v13, v17, v14
	v_div_fixup_f32 v3, v13, v4, v3
	v_fma_f32 v14, -v15, v18, 1.0
	v_fmac_f32_e32 v18, v14, v18
	v_div_scale_f32 v14, vcc, v10, v4, v10
	v_mul_f32_e32 v16, v14, v18
	v_fma_f32 v17, -v15, v16, v14
	v_fmac_f32_e32 v16, v17, v18
	v_fma_f32 v14, -v15, v16, v14
	v_div_fmas_f32 v14, v14, v18, v16
	v_div_fixup_f32 v10, v14, v4, v10
	v_trunc_f32_e32 v14, v10
	v_sub_f32_e32 v15, v10, v14
	v_trunc_f32_e32 v12, v3
	v_cmp_ge_f32_e64 s[16:17], |v15|, 0.5
	v_sub_f32_e32 v13, v3, v12
	s_nop 0
	v_cndmask_b32_e64 v15, 0, 1.0, s[16:17]
	v_cmp_ge_f32_e64 s[16:17], |v13|, 0.5
	v_bfi_b32 v10, s36, v15, v10
	v_add_f32_e32 v10, v14, v10
	v_cndmask_b32_e64 v13, 0, 1.0, s[16:17]
	v_bfi_b32 v3, s36, v13, v3
	v_add_f32_e32 v3, v12, v3
	v_trunc_f32_e32 v12, v2
	v_sub_f32_e32 v13, v2, v12
	v_cmp_ge_f32_e64 s[16:17], |v13|, 0.5
	v_cvt_i32_f32_e32 v10, v10
	v_cvt_i32_f32_e32 v3, v3
	v_cndmask_b32_e64 v13, 0, 1.0, s[16:17]
	v_bfi_b32 v2, s36, v13, v2
	v_add_f32_e32 v2, v12, v2
	v_cvt_i32_f32_e32 v2, v2
	v_and_b32_e32 v10, 0xff, v10
	v_lshlrev_b32_e32 v10, 16, v10
	v_mov_b32_e32 v12, 8
	v_lshlrev_b32_sdwa v3, v12, v3 dst_sel:DWORD dst_unused:UNUSED_PAD src0_sel:DWORD src1_sel:BYTE_0
	v_lshl_or_b32 v2, v2, 24, v10
	v_and_b32_e32 v10, 0xff, v11
	v_or3_b32 v12, v2, v3, v10
.LBB23_5:
	s_or_b64 exec, exec, s[10:11]
	v_and_b32_e32 v2, 7, v129
	v_lshl_add_u64 v[0:1], s[4:5], 0, v[0:1]
	v_lshlrev_b32_e32 v3, 2, v129
	v_cmp_eq_u32_e64 s[4:5], 0, v2
	ds_write_b32 v3, v12
	s_and_saveexec_b64 s[10:11], s[4:5]
	s_cbranch_execz .LBB23_7
; %bb.6:
	s_waitcnt lgkmcnt(1)
	v_add_f32_e32 v5, v5, v9
	ds_write_b64 v129, v[4:5] offset:256
.LBB23_7:
	s_or_b64 exec, exec, s[10:11]
	global_load_dwordx4 v[12:15], v[0:1], off offset:512
	s_mov_b32 s10, 0x42fe0000
	s_waitcnt vmcnt(0)
	v_mov_b32_e32 v0, v15
	v_mov_b32_e32 v1, v13
	v_mul_f32_e32 v10, s8, v12
	v_pk_mul_f32 v[0:1], s[8:9], v[0:1]
	s_waitcnt lgkmcnt(1)
	v_mul_f32_e32 v9, s8, v14
	v_max_f32_e64 v2, |v10|, |v1|
	v_max3_f32 v2, v2, |v9|, |v0|
	ds_bpermute_b32 v4, v7, v2
	v_fma_f32 v5, s8, v12, v1
	v_fmac_f32_e32 v5, s8, v14
	v_add_f32_e32 v5, v5, v0
	ds_bpermute_b32 v7, v7, v5
	s_waitcnt lgkmcnt(1)
	v_max_f32_e32 v4, v4, v4
	v_max_f32_e32 v2, v2, v4
	ds_bpermute_b32 v4, v6, v2
	s_waitcnt lgkmcnt(1)
	v_add_f32_e32 v5, v5, v7
	ds_bpermute_b32 v6, v6, v5
	s_waitcnt lgkmcnt(1)
	v_max_f32_e32 v4, v4, v4
	v_max_f32_e32 v2, v2, v4
	ds_bpermute_b32 v7, v8, v2
	s_waitcnt lgkmcnt(1)
	v_add_f32_e32 v4, v5, v6
	s_waitcnt lgkmcnt(0)
	v_max_f32_e32 v5, v7, v7
	v_max_f32_e32 v2, v2, v5
	v_div_scale_f32 v6, s[8:9], s10, s10, v2
	v_rcp_f32_e32 v7, v6
	ds_bpermute_b32 v5, v8, v4
	v_div_scale_f32 v8, vcc, v2, s10, v2
	v_fma_f32 v11, -v6, v7, 1.0
	v_fmac_f32_e32 v7, v11, v7
	v_mul_f32_e32 v11, v8, v7
	v_fma_f32 v12, -v6, v11, v8
	v_fmac_f32_e32 v11, v12, v7
	v_fma_f32 v6, -v6, v11, v8
	v_div_fmas_f32 v6, v6, v7, v11
	v_div_fixup_f32 v2, v6, s10, v2
	v_cmp_neq_f32_e32 vcc, 0, v2
	v_mov_b32_e32 v6, 0
	s_and_saveexec_b64 s[8:9], vcc
	s_cbranch_execz .LBB23_9
; %bb.8:
	v_div_scale_f32 v6, s[10:11], v2, v2, v10
	v_rcp_f32_e32 v7, v6
	v_div_scale_f32 v8, vcc, v10, v2, v10
	s_brev_b32 s16, -2
	v_fma_f32 v11, -v6, v7, 1.0
	v_fmac_f32_e32 v7, v11, v7
	v_mul_f32_e32 v11, v8, v7
	v_fma_f32 v12, -v6, v11, v8
	v_fmac_f32_e32 v11, v12, v7
	v_fma_f32 v6, -v6, v11, v8
	v_div_fmas_f32 v6, v6, v7, v11
	v_div_fixup_f32 v6, v6, v2, v10
	v_trunc_f32_e32 v7, v6
	v_sub_f32_e32 v8, v6, v7
	v_cmp_ge_f32_e64 s[10:11], |v8|, 0.5
	s_nop 1
	v_cndmask_b32_e64 v8, 0, 1.0, s[10:11]
	v_div_scale_f32 v10, s[10:11], v2, v2, v0
	v_rcp_f32_e32 v11, v10
	v_bfi_b32 v6, s16, v8, v6
	v_add_f32_e32 v6, v7, v6
	v_cvt_i32_f32_e32 v6, v6
	v_fma_f32 v7, -v10, v11, 1.0
	v_fmac_f32_e32 v11, v7, v11
	v_div_scale_f32 v7, vcc, v0, v2, v0
	v_mul_f32_e32 v8, v7, v11
	v_fma_f32 v12, -v10, v8, v7
	v_fmac_f32_e32 v8, v12, v11
	v_div_scale_f32 v12, s[10:11], v2, v2, v1
	v_rcp_f32_e32 v13, v12
	v_fma_f32 v7, -v10, v8, v7
	v_div_fmas_f32 v7, v7, v11, v8
	v_div_fixup_f32 v0, v7, v2, v0
	v_fma_f32 v8, -v12, v13, 1.0
	v_fmac_f32_e32 v13, v8, v13
	v_div_scale_f32 v8, vcc, v1, v2, v1
	v_mul_f32_e32 v10, v8, v13
	v_fma_f32 v11, -v12, v10, v8
	v_fmac_f32_e32 v10, v11, v13
	v_div_scale_f32 v11, s[10:11], v2, v2, v9
	v_rcp_f32_e32 v14, v11
	v_fma_f32 v8, -v12, v10, v8
	v_div_fmas_f32 v8, v8, v13, v10
	v_div_fixup_f32 v1, v8, v2, v1
	v_fma_f32 v10, -v11, v14, 1.0
	v_fmac_f32_e32 v14, v10, v14
	v_div_scale_f32 v10, vcc, v9, v2, v9
	v_mul_f32_e32 v12, v10, v14
	v_fma_f32 v13, -v11, v12, v10
	v_fmac_f32_e32 v12, v13, v14
	v_fma_f32 v10, -v11, v12, v10
	v_div_fmas_f32 v10, v10, v14, v12
	v_div_fixup_f32 v9, v10, v2, v9
	v_trunc_f32_e32 v10, v9
	v_sub_f32_e32 v11, v9, v10
	v_cmp_ge_f32_e64 s[10:11], |v11|, 0.5
	v_trunc_f32_e32 v8, v1
	v_and_b32_e32 v6, 0xff, v6
	v_cndmask_b32_e64 v11, 0, 1.0, s[10:11]
	v_bfi_b32 v9, s16, v11, v9
	v_add_f32_e32 v9, v10, v9
	v_cvt_i32_f32_e32 v9, v9
	v_and_b32_e32 v7, 0xff, v9
	v_sub_f32_e32 v9, v1, v8
	v_cmp_ge_f32_e64 s[10:11], |v9|, 0.5
	v_lshlrev_b32_e32 v7, 16, v7
	s_nop 0
	v_cndmask_b32_e64 v9, 0, 1.0, s[10:11]
	v_bfi_b32 v1, s16, v9, v1
	v_add_f32_e32 v1, v8, v1
	v_trunc_f32_e32 v8, v0
	v_sub_f32_e32 v9, v0, v8
	v_cmp_ge_f32_e64 s[10:11], |v9|, 0.5
	v_cvt_i32_f32_e32 v1, v1
	s_nop 0
	v_cndmask_b32_e64 v9, 0, 1.0, s[10:11]
	v_bfi_b32 v0, s16, v9, v0
	v_add_f32_e32 v0, v8, v0
	v_cvt_i32_f32_e32 v0, v0
	v_mov_b32_e32 v8, 8
	v_lshlrev_b32_sdwa v1, v8, v1 dst_sel:DWORD dst_unused:UNUSED_PAD src0_sel:DWORD src1_sel:BYTE_0
	v_lshl_or_b32 v0, v0, 24, v7
	v_or3_b32 v6, v0, v1, v6
.LBB23_9:
	s_or_b64 exec, exec, s[8:9]
	ds_write_b32 v3, v6 offset:128
	s_and_b64 exec, exec, s[4:5]
	s_cbranch_execz .LBB23_11
; %bb.10:
	s_waitcnt lgkmcnt(1)
	v_add_f32_e32 v3, v4, v5
	ds_write_b64 v129, v[2:3] offset:288
.LBB23_11:
	s_or_b64 exec, exec, s[6:7]
	v_and_b32_e32 v16, 3, v129
	v_lshlrev_b32_e32 v32, 2, v16
	v_mov_b32_e32 v136, 0
	s_waitcnt lgkmcnt(0)
	s_barrier
	ds_read2_b32 v[34:35], v32 offset1:4
	ds_read2_b32 v[36:37], v32 offset0:8 offset1:12
	ds_read_b128 v[0:3], v136 offset:256
	ds_read_b128 v[4:7], v136 offset:272
	;; [unrolled: 1-line block ×4, first 2 shown]
	ds_read2_b32 v[38:39], v32 offset0:16 offset1:20
	ds_read2_b32 v[40:41], v32 offset0:24 offset1:28
	;; [unrolled: 1-line block ×6, first 2 shown]
	s_ashr_i32 s41, s40, 31
	s_ashr_i32 s6, s38, 31
	;; [unrolled: 1-line block ×3, first 2 shown]
	s_cmp_eq_u64 s[26:27], 0
	s_waitcnt lgkmcnt(0)
	s_barrier
	s_cbranch_scc1 .LBB23_13
; %bb.12:
	s_load_dword s4, s[0:1], 0xd0
	s_mov_b32 s5, 0
	s_waitcnt lgkmcnt(0)
	s_mul_i32 s4, s4, s33
	s_add_i32 s4, s4, s2
	s_lshl_b64 s[4:5], s[4:5], 2
	s_add_u32 s4, s26, s4
	s_addc_u32 s5, s27, s5
	s_load_dword s42, s[4:5], 0x0
.LBB23_13:
	v_lshlrev_b32_e32 v17, 5, v51
	v_add_u32_e32 v133, v17, v129
	s_lshl_b32 s16, s3, 7
	s_mov_b32 s27, 0
	s_waitcnt lgkmcnt(0)
	s_cmp_ge_i32 s16, s42
	v_lshlrev_b32_e32 v134, 1, v133
	v_lshlrev_b32_e32 v135, 2, v129
	s_cbranch_scc1 .LBB23_25
; %bb.14:
	s_load_dwordx4 s[36:39], s[0:1], 0x98
	s_load_dwordx2 s[44:45], s[0:1], 0x8c
	s_load_dwordx2 s[4:5], s[0:1], 0xa8
	s_xor_b32 s6, s41, s6
	s_add_i32 s11, s49, 1
	s_waitcnt lgkmcnt(0)
	s_mul_hi_u32 s7, s36, s33
	s_mul_i32 s9, s36, s8
	s_mul_i32 s10, s37, s33
	s_add_i32 s7, s7, s9
	s_add_i32 s7, s7, s10
	s_mul_i32 s10, s49, s46
	s_sub_i32 s10, s47, s10
	s_sub_i32 s17, s10, s46
	s_cmp_ge_u32 s10, s46
	s_cselect_b32 s11, s11, s49
	s_cselect_b32 s10, s17, s10
	s_add_i32 s17, s11, 1
	s_cmp_ge_u32 s10, s46
	s_cselect_b32 s10, s17, s11
	s_xor_b32 s10, s10, s6
	s_sub_i32 s10, s10, s6
	s_mul_i32 s6, s10, s45
	s_mul_i32 s9, s36, s33
	s_ashr_i32 s11, s6, 31
	s_add_u32 s9, s18, s9
	s_addc_u32 s7, s19, s7
	s_add_u32 s9, s9, s6
	s_mul_hi_u32 s17, s4, s33
	s_mul_i32 s18, s4, s8
	s_addc_u32 s11, s7, s11
	s_add_i32 s17, s17, s18
	s_mul_i32 s5, s5, s33
	s_mul_i32 s10, s10, s39
	s_add_i32 s17, s17, s5
	s_mul_i32 s4, s4, s33
	s_ashr_i32 s5, s10, 31
	s_add_u32 s4, s20, s4
	s_addc_u32 s17, s21, s17
	s_add_u32 s10, s4, s10
	s_mul_i32 s48, s48, s12
	s_addc_u32 s21, s17, s5
	s_sub_i32 s4, s43, s48
	v_mul_lo_u32 v60, v17, s38
	s_sub_i32 s5, s4, s12
	v_add_u32_e32 v66, s38, v60
	s_cmp_ge_u32 s4, s12
	v_add_u32_e32 v68, s38, v66
	s_cselect_b32 s4, s5, s4
	v_add_u32_e32 v70, s38, v68
	s_sub_i32 s5, s4, s12
	v_add_u32_e32 v72, s38, v70
	s_cmp_ge_u32 s4, s12
	v_add_u32_e32 v74, s38, v72
	s_load_dwordx2 s[6:7], s[0:1], 0xc8
	s_load_dword s26, s[0:1], 0xd4
	s_cselect_b32 s4, s5, s4
	v_add_u32_e32 v76, s38, v74
	s_xor_b32 s4, s4, s8
	v_add_u32_e32 v78, s38, v76
	s_sub_i32 s4, s4, s8
	v_add_u32_e32 v80, s38, v78
	s_ashr_i32 s5, s4, 31
	v_add_u32_e32 v82, s38, v80
	s_waitcnt lgkmcnt(0)
	s_mul_i32 s5, s6, s5
	s_mul_hi_u32 s8, s6, s4
	v_add_u32_e32 v84, s38, v82
	s_add_i32 s5, s8, s5
	s_mul_i32 s7, s7, s4
	v_add_u32_e32 v86, s38, v84
	s_add_i32 s5, s5, s7
	s_mul_i32 s4, s6, s4
	v_and_b32_e32 v18, 0x7c, v129
	v_add_u32_e32 v88, s38, v86
	s_add_u32 s4, s22, s4
	s_mul_i32 s6, s13, s2
	v_add_u32_e32 v50, v17, v18
	v_mbcnt_hi_u32_b32 v18, -1, v131
	v_add_u32_e32 v90, s38, v88
	s_addc_u32 s5, s23, s5
	s_ashr_i32 s7, s6, 31
	v_and_b32_e32 v19, 0x7c, v18
	v_add_u32_e32 v92, s38, v90
	s_add_u32 s6, s4, s6
	s_mov_b32 s17, s27
	v_add_u32_e32 v19, 4, v19
	v_xor_b32_e32 v20, 2, v18
	v_add_u32_e32 v94, s38, v92
	s_addc_u32 s7, s5, s7
	s_lshl_b64 s[4:5], s[16:17], 1
	v_cmp_lt_i32_e32 vcc, v20, v19
	v_add_u32_e32 v96, s38, v94
	s_add_u32 s18, s6, s4
	v_cndmask_b32_e32 v20, v18, v20, vcc
	v_add_u32_e32 v98, s38, v96
	s_addc_u32 s19, s7, s5
	s_mul_i32 s4, s38, s16
	v_lshlrev_b32_e32 v137, 2, v20
	v_xor_b32_e32 v20, 1, v18
	v_add_u32_e32 v100, s38, v98
	s_add_u32 s20, s10, s4
	v_cmp_lt_i32_e32 vcc, v20, v19
	v_add_u32_e32 v102, s38, v100
	s_addc_u32 s21, s21, 0
	s_mul_i32 s4, s44, s16
	v_cndmask_b32_e32 v19, v18, v20, vcc
	v_add_u32_e32 v104, s38, v102
	s_add_u32 s36, s9, s4
	v_lshlrev_b32_e32 v138, 2, v19
	v_and_b32_e32 v19, 0x60, v18
	v_add_u32_e32 v106, s38, v104
	s_addc_u32 s37, s11, 0
	v_add_u32_e32 v19, 32, v19
	v_cmp_eq_u32_e64 s[4:5], 3, v16
	v_cmp_eq_u32_e64 s[6:7], 0, v16
	;; [unrolled: 1-line block ×4, first 2 shown]
	v_xor_b32_e32 v16, 4, v18
	v_add_u32_e32 v108, s38, v106
	v_cmp_lt_i32_e32 vcc, v16, v19
	v_add_u32_e32 v110, s38, v108
	v_add_u32_e32 v112, s38, v110
	v_cndmask_b32_e32 v16, v18, v16, vcc
	v_lshlrev_b32_e32 v139, 2, v16
	v_xor_b32_e32 v16, 8, v18
	v_add_u32_e32 v114, s38, v112
	v_cmp_lt_i32_e32 vcc, v16, v19
	v_add_u32_e32 v116, s38, v114
	v_add_u32_e32 v118, s38, v116
	v_cndmask_b32_e32 v16, v18, v16, vcc
	v_mul_lo_u32 v52, v50, s44
	v_lshlrev_b32_e32 v140, 2, v16
	v_xor_b32_e32 v16, 16, v18
	v_add_u32_e32 v120, s38, v118
	v_add_u32_e32 v54, s44, v52
	v_cmp_lt_i32_e32 vcc, v16, v19
	v_add_u32_e32 v122, s38, v120
	s_cmp_lg_u64 s[22:23], 0
	v_add_u32_e32 v56, s44, v54
	v_cndmask_b32_e32 v16, v18, v16, vcc
	v_add_u32_e32 v124, s38, v122
	v_mov_b32_e32 v33, 0
	s_cselect_b64 s[22:23], -1, 0
	s_lshl_b32 s26, s26, 7
	v_add_u32_e32 v58, s44, v56
	v_lshlrev_b32_e32 v141, 2, v16
	v_add_u32_e32 v16, 0x80, v135
	v_add_u32_e32 v126, s38, v124
	v_and_b32_e32 v144, 28, v135
	s_mul_i32 s17, s26, s44
	s_mul_i32 s39, s26, s38
	v_ashrrev_i32_e32 v53, 31, v52
	v_ashrrev_i32_e32 v55, 31, v54
	;; [unrolled: 1-line block ×4, first 2 shown]
	v_lshlrev_b32_e32 v142, 1, v17
	v_ashrrev_i32_e32 v61, 31, v60
	v_and_b32_e32 v62, 12, v135
	v_mov_b32_e32 v63, v33
	v_and_b32_e32 v64, 12, v16
	v_mov_b32_e32 v65, v33
	v_ashrrev_i32_e32 v67, 31, v66
	v_ashrrev_i32_e32 v69, 31, v68
	;; [unrolled: 1-line block ×31, first 2 shown]
	s_movk_i32 s38, 0x1000
	s_mov_b32 s43, 0x3fb8aa3b
	s_mov_b32 s44, 0xc2ce8ed0
	;; [unrolled: 1-line block ×4, first 2 shown]
	v_or_b32_e32 v143, 16, v32
	v_and_b32_e32 v145, 4, v129
	v_or_b32_e32 v146, 1, v144
	v_or_b32_e32 v147, 2, v144
	;; [unrolled: 1-line block ×3, first 2 shown]
	v_lshrrev_b32_e32 v128, 5, v16
	v_mov_b32_e32 v24, 0xfeffffff
	v_mov_b32_e32 v149, 0x7f800000
	;; [unrolled: 1-line block ×8, first 2 shown]
	v_bfe_u32 v130, v129, 3, 27
                                        ; implicit-def: $vgpr151
.LBB23_15:                              ; =>This Inner Loop Header: Depth=1
	v_lshl_add_u64 v[16:17], s[36:37], 0, v[52:53]
	v_lshl_add_u64 v[18:19], v[16:17], 0, v[32:33]
	global_load_dword v25, v[18:19], off offset:8
	global_load_dwordx2 v[26:27], v[16:17], off
	s_and_b64 vcc, exec, s[22:23]
	s_waitcnt vmcnt(1)
	v_and_b32_e32 v28, 0xf0f0f0f, v25
	s_waitcnt vmcnt(0)
	v_ashrrev_i32_e32 v29, v32, v27
	v_lshlrev_b32_e32 v30, 4, v29
	v_lshlrev_b32_e32 v31, 11, v29
	;; [unrolled: 1-line block ×4, first 2 shown]
	v_and_b32_e32 v152, 0x100000, v152
	v_and_b32_e32 v29, 0x10000000, v29
	;; [unrolled: 1-line block ×4, first 2 shown]
	v_or3_b32 v28, v29, v28, v152
	v_ashrrev_i32_e32 v27, v143, v27
	v_or3_b32 v28, v28, v30, v31
	v_lshrrev_b32_e32 v25, 4, v25
	v_lshlrev_b32_e32 v30, 4, v27
	v_lshlrev_b32_e32 v31, 11, v27
	;; [unrolled: 1-line block ×4, first 2 shown]
	v_mov_b32_e32 v29, 0
	v_and_b32_e32 v25, 0xf0f0f0f, v25
	v_and_b32_e32 v152, 0x100000, v152
	;; [unrolled: 1-line block ×3, first 2 shown]
	v_dot4c_i32_i8_e32 v29, v28, v34
	v_cvt_f32_f16_e32 v28, v26
	v_cvt_f32_f16_sdwa v26, v26 dst_sel:DWORD dst_unused:UNUSED_PAD src0_sel:WORD_1
	v_and_b32_e32 v30, 16, v30
	v_and_b32_e32 v31, 0x1000, v31
	v_or3_b32 v25, v27, v25, v152
	v_or3_b32 v25, v25, v30, v31
	v_mov_b32_e32 v27, 0
	v_cvt_f32_i32_e32 v29, v29
	v_dot4c_i32_i8_e32 v27, v25, v35
	v_mul_f32_e32 v26, v1, v26
	v_mul_f32_e32 v28, v0, v28
	;; [unrolled: 1-line block ×3, first 2 shown]
	v_cvt_f32_i32_e32 v25, v27
	v_fma_f32 v29, v28, v29, v26
	v_add_f32_e32 v29, 0, v29
	v_fmac_f32_e32 v26, v28, v25
	v_add_f32_e32 v25, v26, v29
	global_load_dword v28, v[18:19], off offset:32
	global_load_dwordx2 v[26:27], v[16:17], off offset:24
	s_waitcnt vmcnt(1)
	v_and_b32_e32 v29, 0xf0f0f0f, v28
	s_waitcnt vmcnt(0)
	v_ashrrev_i32_e32 v30, v32, v27
	v_lshlrev_b32_e32 v31, 4, v30
	v_lshlrev_b32_e32 v152, 11, v30
	v_lshlrev_b32_e32 v153, 18, v30
	v_lshlrev_b32_e32 v30, 25, v30
	v_and_b32_e32 v153, 0x100000, v153
	v_and_b32_e32 v30, 0x10000000, v30
	;; [unrolled: 1-line block ×4, first 2 shown]
	v_or3_b32 v29, v30, v29, v153
	v_or3_b32 v29, v29, v31, v152
	v_mov_b32_e32 v30, 0
	v_dot4c_i32_i8_e32 v30, v29, v36
	v_cvt_f32_f16_e32 v29, v26
	v_cvt_f32_f16_sdwa v26, v26 dst_sel:DWORD dst_unused:UNUSED_PAD src0_sel:WORD_1
	v_ashrrev_i32_e32 v27, v143, v27
	v_cvt_f32_i32_e32 v30, v30
	v_mul_f32_e32 v29, v2, v29
	v_mul_f32_e32 v26, v3, v26
	;; [unrolled: 1-line block ×3, first 2 shown]
	v_fma_f32 v30, v29, v30, v26
	v_add_f32_e32 v25, v25, v30
	v_lshrrev_b32_e32 v28, 4, v28
	v_lshlrev_b32_e32 v30, 4, v27
	v_lshlrev_b32_e32 v31, 11, v27
	;; [unrolled: 1-line block ×4, first 2 shown]
	v_and_b32_e32 v28, 0xf0f0f0f, v28
	v_and_b32_e32 v152, 0x100000, v152
	;; [unrolled: 1-line block ×5, first 2 shown]
	v_or3_b32 v27, v27, v28, v152
	v_or3_b32 v27, v27, v30, v31
	v_mov_b32_e32 v28, 0
	v_dot4c_i32_i8_e32 v28, v27, v37
	s_nop 2
	v_cvt_f32_i32_e32 v27, v28
	global_load_dword v28, v[18:19], off offset:56
	v_fmac_f32_e32 v26, v29, v27
	v_add_f32_e32 v25, v26, v25
	global_load_dwordx2 v[26:27], v[16:17], off offset:48
	s_waitcnt vmcnt(1)
	v_and_b32_e32 v29, 0xf0f0f0f, v28
	v_lshrrev_b32_e32 v28, 4, v28
	v_and_b32_e32 v28, 0xf0f0f0f, v28
	s_waitcnt vmcnt(0)
	v_ashrrev_i32_e32 v30, v32, v27
	v_lshlrev_b32_e32 v31, 4, v30
	v_lshlrev_b32_e32 v152, 11, v30
	;; [unrolled: 1-line block ×4, first 2 shown]
	v_and_b32_e32 v153, 0x100000, v153
	v_and_b32_e32 v30, 0x10000000, v30
	;; [unrolled: 1-line block ×4, first 2 shown]
	v_or3_b32 v29, v30, v29, v153
	v_or3_b32 v29, v29, v31, v152
	v_mov_b32_e32 v30, 0
	v_dot4c_i32_i8_e32 v30, v29, v38
	v_cvt_f32_f16_e32 v29, v26
	v_cvt_f32_f16_sdwa v26, v26 dst_sel:DWORD dst_unused:UNUSED_PAD src0_sel:WORD_1
	v_ashrrev_i32_e32 v27, v143, v27
	v_cvt_f32_i32_e32 v30, v30
	v_mul_f32_e32 v29, v4, v29
	v_mul_f32_e32 v26, v5, v26
	;; [unrolled: 1-line block ×3, first 2 shown]
	v_fma_f32 v30, v29, v30, v26
	v_add_f32_e32 v25, v25, v30
	v_lshlrev_b32_e32 v30, 4, v27
	v_lshlrev_b32_e32 v31, 11, v27
	;; [unrolled: 1-line block ×4, first 2 shown]
	v_and_b32_e32 v152, 0x100000, v152
	v_and_b32_e32 v27, 0x10000000, v27
	;; [unrolled: 1-line block ×4, first 2 shown]
	v_or3_b32 v27, v27, v28, v152
	v_or3_b32 v27, v27, v30, v31
	v_mov_b32_e32 v28, 0
	v_dot4c_i32_i8_e32 v28, v27, v39
	s_nop 2
	v_cvt_f32_i32_e32 v27, v28
	v_fmac_f32_e32 v26, v29, v27
	v_add_f32_e32 v25, v26, v25
	global_load_dword v29, v[18:19], off offset:80
	global_load_dwordx2 v[26:27], v[16:17], off offset:72
	s_waitcnt vmcnt(1)
	v_and_b32_e32 v28, 0xf0f0f0f, v29
	s_waitcnt vmcnt(0)
	v_ashrrev_i32_e32 v30, v32, v27
	v_lshlrev_b32_e32 v31, 4, v30
	v_lshlrev_b32_e32 v152, 11, v30
	v_lshlrev_b32_e32 v153, 18, v30
	v_lshlrev_b32_e32 v30, 25, v30
	v_and_b32_e32 v153, 0x100000, v153
	v_and_b32_e32 v30, 0x10000000, v30
	v_and_b32_e32 v31, 16, v31
	v_and_b32_e32 v152, 0x1000, v152
	v_or3_b32 v28, v30, v28, v153
	v_or3_b32 v28, v28, v31, v152
	v_mov_b32_e32 v30, 0
	v_dot4c_i32_i8_e32 v30, v28, v40
	v_cvt_f32_f16_e32 v28, v26
	v_cvt_f32_f16_sdwa v31, v26 dst_sel:DWORD dst_unused:UNUSED_PAD src0_sel:WORD_1
	v_ashrrev_i32_e32 v27, v143, v27
	v_lshrrev_b32_e32 v29, 4, v29
	v_mul_f32_e32 v26, v6, v28
	v_mul_f32_e32 v28, v7, v31
	v_lshlrev_b32_e32 v31, 4, v27
	v_lshlrev_b32_e32 v152, 11, v27
	v_lshlrev_b32_e32 v153, 18, v27
	v_lshlrev_b32_e32 v27, 25, v27
	v_and_b32_e32 v29, 0xf0f0f0f, v29
	v_and_b32_e32 v153, 0x100000, v153
	v_and_b32_e32 v27, 0x10000000, v27
	v_and_b32_e32 v31, 16, v31
	v_and_b32_e32 v152, 0x1000, v152
	v_or3_b32 v27, v27, v29, v153
	v_or3_b32 v27, v27, v31, v152
	v_mov_b32_e32 v29, 0
	v_dot4c_i32_i8_e32 v29, v27, v41
	v_cvt_f32_i32_e32 v31, v30
	v_mul_f32_e32 v28, 0x3e000000, v28
	s_nop 0
	v_cvt_f32_i32_e32 v30, v29
	v_pk_fma_f32 v[26:27], v[26:27], v[30:31], v[28:29] op_sel_hi:[0,1,0]
	v_add_f32_e32 v25, v25, v27
	v_add_f32_e32 v25, v26, v25
	global_load_dword v29, v[18:19], off offset:104
	global_load_dwordx2 v[26:27], v[16:17], off offset:96
	s_waitcnt vmcnt(1)
	v_and_b32_e32 v28, 0xf0f0f0f, v29
	s_waitcnt vmcnt(0)
	v_ashrrev_i32_e32 v30, v32, v27
	v_lshlrev_b32_e32 v31, 4, v30
	v_lshlrev_b32_e32 v152, 11, v30
	v_lshlrev_b32_e32 v153, 18, v30
	v_lshlrev_b32_e32 v30, 25, v30
	v_and_b32_e32 v153, 0x100000, v153
	v_and_b32_e32 v30, 0x10000000, v30
	v_and_b32_e32 v31, 16, v31
	v_and_b32_e32 v152, 0x1000, v152
	v_or3_b32 v28, v30, v28, v153
	v_or3_b32 v28, v28, v31, v152
	v_mov_b32_e32 v30, 0
	v_dot4c_i32_i8_e32 v30, v28, v42
	v_cvt_f32_f16_e32 v28, v26
	v_cvt_f32_f16_sdwa v31, v26 dst_sel:DWORD dst_unused:UNUSED_PAD src0_sel:WORD_1
	v_ashrrev_i32_e32 v27, v143, v27
	v_lshrrev_b32_e32 v29, 4, v29
	v_mul_f32_e32 v26, v8, v28
	v_mul_f32_e32 v28, v9, v31
	v_lshlrev_b32_e32 v31, 4, v27
	v_lshlrev_b32_e32 v152, 11, v27
	v_lshlrev_b32_e32 v153, 18, v27
	v_lshlrev_b32_e32 v27, 25, v27
	v_and_b32_e32 v29, 0xf0f0f0f, v29
	v_and_b32_e32 v153, 0x100000, v153
	v_and_b32_e32 v27, 0x10000000, v27
	v_and_b32_e32 v31, 16, v31
	v_and_b32_e32 v152, 0x1000, v152
	v_or3_b32 v27, v27, v29, v153
	v_or3_b32 v27, v27, v31, v152
	v_mov_b32_e32 v29, 0
	v_dot4c_i32_i8_e32 v29, v27, v43
	v_cvt_f32_i32_e32 v31, v30
	v_mul_f32_e32 v28, 0x3e000000, v28
	s_nop 0
	v_cvt_f32_i32_e32 v30, v29
	v_pk_fma_f32 v[26:27], v[26:27], v[30:31], v[28:29] op_sel_hi:[0,1,0]
	v_add_f32_e32 v25, v25, v27
	;; [unrolled: 44-line block ×3, first 2 shown]
	v_add_f32_e32 v25, v26, v25
	global_load_dword v29, v[18:19], off offset:152
	global_load_dwordx2 v[26:27], v[16:17], off offset:144
	s_waitcnt vmcnt(1)
	v_and_b32_e32 v28, 0xf0f0f0f, v29
	global_load_dword v19, v[18:19], off offset:176
	s_waitcnt vmcnt(1)
	v_ashrrev_i32_e32 v30, v32, v27
	global_load_dwordx2 v[16:17], v[16:17], off offset:168
	v_lshlrev_b32_e32 v31, 4, v30
	v_lshlrev_b32_e32 v152, 11, v30
	;; [unrolled: 1-line block ×4, first 2 shown]
	v_and_b32_e32 v153, 0x100000, v153
	v_and_b32_e32 v30, 0x10000000, v30
	;; [unrolled: 1-line block ×4, first 2 shown]
	v_or3_b32 v28, v30, v28, v153
	v_or3_b32 v28, v28, v31, v152
	v_mov_b32_e32 v30, 0
	v_dot4c_i32_i8_e32 v30, v28, v46
	v_cvt_f32_f16_e32 v28, v26
	v_cvt_f32_f16_sdwa v31, v26 dst_sel:DWORD dst_unused:UNUSED_PAD src0_sel:WORD_1
	v_ashrrev_i32_e32 v27, v143, v27
	v_lshrrev_b32_e32 v29, 4, v29
	v_mul_f32_e32 v26, v12, v28
	v_mul_f32_e32 v28, v13, v31
	v_lshlrev_b32_e32 v31, 4, v27
	v_lshlrev_b32_e32 v152, 11, v27
	;; [unrolled: 1-line block ×4, first 2 shown]
	v_and_b32_e32 v29, 0xf0f0f0f, v29
	v_and_b32_e32 v153, 0x100000, v153
	v_and_b32_e32 v27, 0x10000000, v27
	v_and_b32_e32 v31, 16, v31
	v_and_b32_e32 v152, 0x1000, v152
	v_or3_b32 v27, v27, v29, v153
	v_or3_b32 v27, v27, v31, v152
	v_mov_b32_e32 v29, 0
	v_dot4c_i32_i8_e32 v29, v27, v47
	v_cvt_f32_i32_e32 v31, v30
	v_mul_f32_e32 v28, 0x3e000000, v28
	s_waitcnt vmcnt(1)
	v_and_b32_e32 v18, 0xf0f0f0f, v19
	v_cvt_f32_i32_e32 v30, v29
	v_lshrrev_b32_e32 v19, 4, v19
	v_and_b32_e32 v19, 0xf0f0f0f, v19
	v_pk_fma_f32 v[26:27], v[26:27], v[30:31], v[28:29] op_sel_hi:[0,1,0]
	v_add_f32_e32 v25, v25, v27
	v_add_f32_e32 v25, v26, v25
	s_waitcnt vmcnt(0)
	v_ashrrev_i32_e32 v26, v32, v17
	v_lshlrev_b32_e32 v27, 4, v26
	v_lshlrev_b32_e32 v28, 11, v26
	;; [unrolled: 1-line block ×4, first 2 shown]
	v_and_b32_e32 v29, 0x100000, v29
	v_and_b32_e32 v26, 0x10000000, v26
	;; [unrolled: 1-line block ×4, first 2 shown]
	v_or3_b32 v18, v26, v18, v29
	v_or3_b32 v18, v18, v27, v28
	v_mov_b32_e32 v26, 0
	v_dot4c_i32_i8_e32 v26, v18, v48
	v_cvt_f32_f16_e32 v18, v16
	v_cvt_f32_f16_sdwa v27, v16 dst_sel:DWORD dst_unused:UNUSED_PAD src0_sel:WORD_1
	v_ashrrev_i32_e32 v17, v143, v17
	v_lshlrev_b32_e32 v28, 11, v17
	v_mul_f32_e32 v16, v14, v18
	v_mul_f32_e32 v18, v15, v27
	v_lshlrev_b32_e32 v27, 4, v17
	v_lshlrev_b32_e32 v29, 18, v17
	;; [unrolled: 1-line block ×3, first 2 shown]
	v_and_b32_e32 v29, 0x100000, v29
	v_and_b32_e32 v17, 0x10000000, v17
	;; [unrolled: 1-line block ×4, first 2 shown]
	v_or3_b32 v17, v17, v19, v29
	v_or3_b32 v17, v17, v27, v28
	v_mov_b32_e32 v19, 0
	v_dot4c_i32_i8_e32 v19, v17, v49
	v_cvt_f32_i32_e32 v27, v26
	v_mul_f32_e32 v18, 0x3e000000, v18
	s_nop 0
	v_cvt_f32_i32_e32 v26, v19
	v_pk_fma_f32 v[16:17], v[16:17], v[26:27], v[18:19] op_sel_hi:[0,1,0]
	v_add_f32_e32 v17, v25, v17
	v_add_f32_e32 v16, v16, v17
	ds_bpermute_b32 v17, v137, v16
	v_lshlrev_b32_e32 v26, 1, v50
	s_waitcnt lgkmcnt(0)
	v_add_f32_e32 v16, v16, v17
	ds_bpermute_b32 v17, v138, v16
	s_waitcnt lgkmcnt(0)
	v_add_f32_e32 v25, v16, v17
	s_cbranch_vccz .LBB23_17
; %bb.16:                               ;   in Loop: Header=BB23_15 Depth=1
	global_load_ushort v16, v26, s[18:19]
	s_waitcnt vmcnt(0)
	v_fma_mix_f32 v25, v132, v16, v25 op_sel_hi:[0,1,0]
.LBB23_17:                              ;   in Loop: Header=BB23_15 Depth=1
	v_lshl_add_u64 v[16:17], s[36:37], 0, v[54:55]
	v_lshl_add_u64 v[18:19], v[16:17], 0, v[32:33]
	global_load_dword v27, v[18:19], off offset:8
	global_load_dwordx2 v[28:29], v[16:17], off
	s_andn2_b64 vcc, exec, s[22:23]
	s_waitcnt vmcnt(1)
	v_and_b32_e32 v30, 0xf0f0f0f, v27
	s_waitcnt vmcnt(0)
	v_ashrrev_i32_e32 v31, v32, v29
	v_lshlrev_b32_e32 v152, 4, v31
	v_lshlrev_b32_e32 v153, 11, v31
	;; [unrolled: 1-line block ×4, first 2 shown]
	v_and_b32_e32 v154, 0x100000, v154
	v_and_b32_e32 v31, 0x10000000, v31
	;; [unrolled: 1-line block ×4, first 2 shown]
	v_or3_b32 v30, v31, v30, v154
	v_ashrrev_i32_e32 v29, v143, v29
	v_or3_b32 v30, v30, v152, v153
	v_lshrrev_b32_e32 v27, 4, v27
	v_lshlrev_b32_e32 v152, 4, v29
	v_lshlrev_b32_e32 v153, 11, v29
	;; [unrolled: 1-line block ×4, first 2 shown]
	v_mov_b32_e32 v31, 0
	v_and_b32_e32 v27, 0xf0f0f0f, v27
	v_and_b32_e32 v154, 0x100000, v154
	;; [unrolled: 1-line block ×3, first 2 shown]
	v_dot4c_i32_i8_e32 v31, v30, v34
	v_cvt_f32_f16_e32 v30, v28
	v_cvt_f32_f16_sdwa v28, v28 dst_sel:DWORD dst_unused:UNUSED_PAD src0_sel:WORD_1
	v_and_b32_e32 v152, 16, v152
	v_and_b32_e32 v153, 0x1000, v153
	v_or3_b32 v27, v29, v27, v154
	v_or3_b32 v27, v27, v152, v153
	v_mov_b32_e32 v29, 0
	v_cvt_f32_i32_e32 v31, v31
	v_dot4c_i32_i8_e32 v29, v27, v35
	v_mul_f32_e32 v28, v1, v28
	v_mul_f32_e32 v30, v0, v30
	;; [unrolled: 1-line block ×3, first 2 shown]
	v_cvt_f32_i32_e32 v27, v29
	v_fma_f32 v31, v30, v31, v28
	v_add_f32_e32 v31, 0, v31
	v_fmac_f32_e32 v28, v30, v27
	v_add_f32_e32 v27, v28, v31
	global_load_dword v30, v[18:19], off offset:32
	global_load_dwordx2 v[28:29], v[16:17], off offset:24
	s_waitcnt vmcnt(1)
	v_and_b32_e32 v31, 0xf0f0f0f, v30
	s_waitcnt vmcnt(0)
	v_ashrrev_i32_e32 v152, v32, v29
	v_lshlrev_b32_e32 v153, 4, v152
	v_lshlrev_b32_e32 v154, 11, v152
	;; [unrolled: 1-line block ×4, first 2 shown]
	v_and_b32_e32 v155, 0x100000, v155
	v_and_b32_e32 v152, 0x10000000, v152
	;; [unrolled: 1-line block ×4, first 2 shown]
	v_or3_b32 v31, v152, v31, v155
	v_or3_b32 v31, v31, v153, v154
	v_mov_b32_e32 v152, 0
	v_dot4c_i32_i8_e32 v152, v31, v36
	v_cvt_f32_f16_e32 v31, v28
	v_cvt_f32_f16_sdwa v28, v28 dst_sel:DWORD dst_unused:UNUSED_PAD src0_sel:WORD_1
	v_ashrrev_i32_e32 v29, v143, v29
	v_cvt_f32_i32_e32 v152, v152
	v_mul_f32_e32 v31, v2, v31
	v_mul_f32_e32 v28, v3, v28
	;; [unrolled: 1-line block ×3, first 2 shown]
	v_fma_f32 v152, v31, v152, v28
	v_add_f32_e32 v27, v27, v152
	v_lshrrev_b32_e32 v30, 4, v30
	v_lshlrev_b32_e32 v152, 4, v29
	v_lshlrev_b32_e32 v153, 11, v29
	;; [unrolled: 1-line block ×4, first 2 shown]
	v_and_b32_e32 v30, 0xf0f0f0f, v30
	v_and_b32_e32 v154, 0x100000, v154
	;; [unrolled: 1-line block ×5, first 2 shown]
	v_or3_b32 v29, v29, v30, v154
	v_or3_b32 v29, v29, v152, v153
	v_mov_b32_e32 v30, 0
	v_dot4c_i32_i8_e32 v30, v29, v37
	s_nop 2
	v_cvt_f32_i32_e32 v29, v30
	global_load_dword v30, v[18:19], off offset:56
	v_fmac_f32_e32 v28, v31, v29
	v_add_f32_e32 v27, v28, v27
	global_load_dwordx2 v[28:29], v[16:17], off offset:48
	s_waitcnt vmcnt(1)
	v_and_b32_e32 v31, 0xf0f0f0f, v30
	v_lshrrev_b32_e32 v30, 4, v30
	v_and_b32_e32 v30, 0xf0f0f0f, v30
	s_waitcnt vmcnt(0)
	v_ashrrev_i32_e32 v152, v32, v29
	v_lshlrev_b32_e32 v153, 4, v152
	v_lshlrev_b32_e32 v154, 11, v152
	;; [unrolled: 1-line block ×4, first 2 shown]
	v_and_b32_e32 v155, 0x100000, v155
	v_and_b32_e32 v152, 0x10000000, v152
	;; [unrolled: 1-line block ×4, first 2 shown]
	v_or3_b32 v31, v152, v31, v155
	v_or3_b32 v31, v31, v153, v154
	v_mov_b32_e32 v152, 0
	v_dot4c_i32_i8_e32 v152, v31, v38
	v_cvt_f32_f16_e32 v31, v28
	v_cvt_f32_f16_sdwa v28, v28 dst_sel:DWORD dst_unused:UNUSED_PAD src0_sel:WORD_1
	v_ashrrev_i32_e32 v29, v143, v29
	v_cvt_f32_i32_e32 v152, v152
	v_mul_f32_e32 v31, v4, v31
	v_mul_f32_e32 v28, v5, v28
	;; [unrolled: 1-line block ×3, first 2 shown]
	v_fma_f32 v152, v31, v152, v28
	v_add_f32_e32 v27, v27, v152
	v_lshlrev_b32_e32 v152, 4, v29
	v_lshlrev_b32_e32 v153, 11, v29
	;; [unrolled: 1-line block ×4, first 2 shown]
	v_and_b32_e32 v154, 0x100000, v154
	v_and_b32_e32 v29, 0x10000000, v29
	;; [unrolled: 1-line block ×4, first 2 shown]
	v_or3_b32 v29, v29, v30, v154
	v_or3_b32 v29, v29, v152, v153
	v_mov_b32_e32 v30, 0
	v_dot4c_i32_i8_e32 v30, v29, v39
	s_nop 2
	v_cvt_f32_i32_e32 v29, v30
	v_fmac_f32_e32 v28, v31, v29
	v_add_f32_e32 v27, v28, v27
	global_load_dword v31, v[18:19], off offset:80
	global_load_dwordx2 v[28:29], v[16:17], off offset:72
	s_waitcnt vmcnt(1)
	v_and_b32_e32 v30, 0xf0f0f0f, v31
	s_waitcnt vmcnt(0)
	v_ashrrev_i32_e32 v152, v32, v29
	v_lshlrev_b32_e32 v153, 4, v152
	v_lshlrev_b32_e32 v154, 11, v152
	v_lshlrev_b32_e32 v155, 18, v152
	v_lshlrev_b32_e32 v152, 25, v152
	v_and_b32_e32 v155, 0x100000, v155
	v_and_b32_e32 v152, 0x10000000, v152
	v_and_b32_e32 v153, 16, v153
	v_and_b32_e32 v154, 0x1000, v154
	v_or3_b32 v30, v152, v30, v155
	v_or3_b32 v30, v30, v153, v154
	v_mov_b32_e32 v152, 0
	v_dot4c_i32_i8_e32 v152, v30, v40
	v_cvt_f32_f16_e32 v30, v28
	v_cvt_f32_f16_sdwa v153, v28 dst_sel:DWORD dst_unused:UNUSED_PAD src0_sel:WORD_1
	v_ashrrev_i32_e32 v29, v143, v29
	v_lshrrev_b32_e32 v31, 4, v31
	v_mul_f32_e32 v28, v6, v30
	v_mul_f32_e32 v30, v7, v153
	v_lshlrev_b32_e32 v153, 4, v29
	v_lshlrev_b32_e32 v154, 11, v29
	v_lshlrev_b32_e32 v155, 18, v29
	v_lshlrev_b32_e32 v29, 25, v29
	v_and_b32_e32 v31, 0xf0f0f0f, v31
	v_and_b32_e32 v155, 0x100000, v155
	v_and_b32_e32 v29, 0x10000000, v29
	v_and_b32_e32 v153, 16, v153
	v_and_b32_e32 v154, 0x1000, v154
	v_or3_b32 v29, v29, v31, v155
	v_or3_b32 v29, v29, v153, v154
	v_mov_b32_e32 v31, 0
	v_dot4c_i32_i8_e32 v31, v29, v41
	v_cvt_f32_i32_e32 v153, v152
	v_mul_f32_e32 v30, 0x3e000000, v30
	s_nop 0
	v_cvt_f32_i32_e32 v152, v31
	v_pk_fma_f32 v[28:29], v[28:29], v[152:153], v[30:31] op_sel_hi:[0,1,0]
	v_add_f32_e32 v27, v27, v29
	v_add_f32_e32 v27, v28, v27
	global_load_dword v31, v[18:19], off offset:104
	global_load_dwordx2 v[28:29], v[16:17], off offset:96
	s_waitcnt vmcnt(1)
	v_and_b32_e32 v30, 0xf0f0f0f, v31
	s_waitcnt vmcnt(0)
	v_ashrrev_i32_e32 v152, v32, v29
	v_lshlrev_b32_e32 v153, 4, v152
	v_lshlrev_b32_e32 v154, 11, v152
	v_lshlrev_b32_e32 v155, 18, v152
	v_lshlrev_b32_e32 v152, 25, v152
	v_and_b32_e32 v155, 0x100000, v155
	v_and_b32_e32 v152, 0x10000000, v152
	v_and_b32_e32 v153, 16, v153
	v_and_b32_e32 v154, 0x1000, v154
	v_or3_b32 v30, v152, v30, v155
	v_or3_b32 v30, v30, v153, v154
	v_mov_b32_e32 v152, 0
	v_dot4c_i32_i8_e32 v152, v30, v42
	v_cvt_f32_f16_e32 v30, v28
	v_cvt_f32_f16_sdwa v153, v28 dst_sel:DWORD dst_unused:UNUSED_PAD src0_sel:WORD_1
	v_ashrrev_i32_e32 v29, v143, v29
	v_lshrrev_b32_e32 v31, 4, v31
	v_mul_f32_e32 v28, v8, v30
	v_mul_f32_e32 v30, v9, v153
	v_lshlrev_b32_e32 v153, 4, v29
	v_lshlrev_b32_e32 v154, 11, v29
	v_lshlrev_b32_e32 v155, 18, v29
	v_lshlrev_b32_e32 v29, 25, v29
	v_and_b32_e32 v31, 0xf0f0f0f, v31
	v_and_b32_e32 v155, 0x100000, v155
	v_and_b32_e32 v29, 0x10000000, v29
	v_and_b32_e32 v153, 16, v153
	v_and_b32_e32 v154, 0x1000, v154
	v_or3_b32 v29, v29, v31, v155
	v_or3_b32 v29, v29, v153, v154
	v_mov_b32_e32 v31, 0
	v_dot4c_i32_i8_e32 v31, v29, v43
	v_cvt_f32_i32_e32 v153, v152
	v_mul_f32_e32 v30, 0x3e000000, v30
	s_nop 0
	v_cvt_f32_i32_e32 v152, v31
	v_pk_fma_f32 v[28:29], v[28:29], v[152:153], v[30:31] op_sel_hi:[0,1,0]
	v_add_f32_e32 v27, v27, v29
	;; [unrolled: 44-line block ×3, first 2 shown]
	v_add_f32_e32 v27, v28, v27
	global_load_dword v31, v[18:19], off offset:152
	global_load_dwordx2 v[28:29], v[16:17], off offset:144
	s_waitcnt vmcnt(1)
	v_and_b32_e32 v30, 0xf0f0f0f, v31
	global_load_dword v19, v[18:19], off offset:176
	s_waitcnt vmcnt(1)
	v_ashrrev_i32_e32 v152, v32, v29
	global_load_dwordx2 v[16:17], v[16:17], off offset:168
	v_lshlrev_b32_e32 v153, 4, v152
	v_lshlrev_b32_e32 v154, 11, v152
	;; [unrolled: 1-line block ×4, first 2 shown]
	v_and_b32_e32 v155, 0x100000, v155
	v_and_b32_e32 v152, 0x10000000, v152
	;; [unrolled: 1-line block ×4, first 2 shown]
	v_or3_b32 v30, v152, v30, v155
	v_or3_b32 v30, v30, v153, v154
	v_mov_b32_e32 v152, 0
	v_dot4c_i32_i8_e32 v152, v30, v46
	v_cvt_f32_f16_e32 v30, v28
	v_cvt_f32_f16_sdwa v153, v28 dst_sel:DWORD dst_unused:UNUSED_PAD src0_sel:WORD_1
	v_ashrrev_i32_e32 v29, v143, v29
	v_lshrrev_b32_e32 v31, 4, v31
	v_mul_f32_e32 v28, v12, v30
	v_mul_f32_e32 v30, v13, v153
	v_lshlrev_b32_e32 v153, 4, v29
	v_lshlrev_b32_e32 v154, 11, v29
	;; [unrolled: 1-line block ×4, first 2 shown]
	v_and_b32_e32 v31, 0xf0f0f0f, v31
	v_and_b32_e32 v155, 0x100000, v155
	;; [unrolled: 1-line block ×5, first 2 shown]
	v_or3_b32 v29, v29, v31, v155
	v_or3_b32 v29, v29, v153, v154
	v_mov_b32_e32 v31, 0
	v_dot4c_i32_i8_e32 v31, v29, v47
	v_cvt_f32_i32_e32 v153, v152
	v_mul_f32_e32 v30, 0x3e000000, v30
	s_waitcnt vmcnt(1)
	v_and_b32_e32 v18, 0xf0f0f0f, v19
	v_cvt_f32_i32_e32 v152, v31
	v_lshrrev_b32_e32 v19, 4, v19
	v_and_b32_e32 v19, 0xf0f0f0f, v19
	v_pk_fma_f32 v[28:29], v[28:29], v[152:153], v[30:31] op_sel_hi:[0,1,0]
	v_add_f32_e32 v27, v27, v29
	v_add_f32_e32 v27, v28, v27
	s_waitcnt vmcnt(0)
	v_ashrrev_i32_e32 v28, v32, v17
	v_lshlrev_b32_e32 v29, 4, v28
	v_lshlrev_b32_e32 v30, 11, v28
	;; [unrolled: 1-line block ×4, first 2 shown]
	v_and_b32_e32 v31, 0x100000, v31
	v_and_b32_e32 v28, 0x10000000, v28
	;; [unrolled: 1-line block ×4, first 2 shown]
	v_or3_b32 v18, v28, v18, v31
	v_or3_b32 v18, v18, v29, v30
	v_mov_b32_e32 v28, 0
	v_dot4c_i32_i8_e32 v28, v18, v48
	v_cvt_f32_f16_e32 v18, v16
	v_cvt_f32_f16_sdwa v29, v16 dst_sel:DWORD dst_unused:UNUSED_PAD src0_sel:WORD_1
	v_ashrrev_i32_e32 v17, v143, v17
	v_lshlrev_b32_e32 v30, 11, v17
	v_mul_f32_e32 v16, v14, v18
	v_mul_f32_e32 v18, v15, v29
	v_lshlrev_b32_e32 v29, 4, v17
	v_lshlrev_b32_e32 v31, 18, v17
	;; [unrolled: 1-line block ×3, first 2 shown]
	v_and_b32_e32 v31, 0x100000, v31
	v_and_b32_e32 v17, 0x10000000, v17
	;; [unrolled: 1-line block ×4, first 2 shown]
	v_or3_b32 v17, v17, v19, v31
	v_or3_b32 v17, v17, v29, v30
	v_mov_b32_e32 v19, 0
	v_dot4c_i32_i8_e32 v19, v17, v49
	v_cvt_f32_i32_e32 v29, v28
	v_mul_f32_e32 v18, 0x3e000000, v18
	s_nop 0
	v_cvt_f32_i32_e32 v28, v19
	v_pk_fma_f32 v[16:17], v[16:17], v[28:29], v[18:19] op_sel_hi:[0,1,0]
	v_add_f32_e32 v17, v27, v17
	v_add_f32_e32 v16, v16, v17
	ds_bpermute_b32 v17, v137, v16
	s_waitcnt lgkmcnt(0)
	v_add_f32_e32 v16, v16, v17
	ds_bpermute_b32 v17, v138, v16
	s_waitcnt lgkmcnt(0)
	v_add_f32_e32 v27, v16, v17
	v_cndmask_b32_e64 v16, 0, 1, s[22:23]
	v_cmp_ne_u32_e64 s[12:13], 1, v16
	s_cbranch_vccnz .LBB23_19
; %bb.18:                               ;   in Loop: Header=BB23_15 Depth=1
	global_load_ushort v16, v26, s[18:19] offset:2
	s_waitcnt vmcnt(0)
	v_fma_mix_f32 v27, v132, v16, v27 op_sel_hi:[0,1,0]
.LBB23_19:                              ;   in Loop: Header=BB23_15 Depth=1
	v_lshl_add_u64 v[16:17], s[36:37], 0, v[56:57]
	v_lshl_add_u64 v[18:19], v[16:17], 0, v[32:33]
	global_load_dword v30, v[18:19], off offset:8
	global_load_dwordx2 v[28:29], v[16:17], off
	s_and_b64 vcc, exec, s[12:13]
	s_waitcnt vmcnt(1)
	v_and_b32_e32 v31, 0xf0f0f0f, v30
	s_waitcnt vmcnt(0)
	v_ashrrev_i32_e32 v152, v32, v29
	v_lshlrev_b32_e32 v153, 4, v152
	v_lshlrev_b32_e32 v154, 11, v152
	;; [unrolled: 1-line block ×4, first 2 shown]
	v_and_b32_e32 v155, 0x100000, v155
	v_and_b32_e32 v152, 0x10000000, v152
	;; [unrolled: 1-line block ×4, first 2 shown]
	v_or3_b32 v31, v152, v31, v155
	v_ashrrev_i32_e32 v29, v143, v29
	v_or3_b32 v31, v31, v153, v154
	v_lshrrev_b32_e32 v30, 4, v30
	v_lshlrev_b32_e32 v153, 4, v29
	v_lshlrev_b32_e32 v154, 11, v29
	;; [unrolled: 1-line block ×4, first 2 shown]
	v_mov_b32_e32 v152, 0
	v_and_b32_e32 v30, 0xf0f0f0f, v30
	v_and_b32_e32 v155, 0x100000, v155
	v_and_b32_e32 v29, 0x10000000, v29
	v_dot4c_i32_i8_e32 v152, v31, v34
	v_cvt_f32_f16_e32 v31, v28
	v_cvt_f32_f16_sdwa v28, v28 dst_sel:DWORD dst_unused:UNUSED_PAD src0_sel:WORD_1
	v_and_b32_e32 v153, 16, v153
	v_and_b32_e32 v154, 0x1000, v154
	v_or3_b32 v29, v29, v30, v155
	v_or3_b32 v29, v29, v153, v154
	v_mov_b32_e32 v30, 0
	v_cvt_f32_i32_e32 v152, v152
	v_dot4c_i32_i8_e32 v30, v29, v35
	v_mul_f32_e32 v28, v1, v28
	v_mul_f32_e32 v31, v0, v31
	;; [unrolled: 1-line block ×3, first 2 shown]
	v_cvt_f32_i32_e32 v29, v30
	v_fma_f32 v152, v31, v152, v28
	v_add_f32_e32 v152, 0, v152
	v_fmac_f32_e32 v28, v31, v29
	v_add_f32_e32 v30, v28, v152
	global_load_dword v31, v[18:19], off offset:32
	global_load_dwordx2 v[28:29], v[16:17], off offset:24
	s_waitcnt vmcnt(1)
	v_and_b32_e32 v152, 0xf0f0f0f, v31
	s_waitcnt vmcnt(0)
	v_ashrrev_i32_e32 v153, v32, v29
	v_lshlrev_b32_e32 v154, 4, v153
	v_lshlrev_b32_e32 v155, 11, v153
	;; [unrolled: 1-line block ×4, first 2 shown]
	v_and_b32_e32 v156, 0x100000, v156
	v_and_b32_e32 v153, 0x10000000, v153
	;; [unrolled: 1-line block ×4, first 2 shown]
	v_or3_b32 v152, v153, v152, v156
	v_or3_b32 v152, v152, v154, v155
	v_mov_b32_e32 v153, 0
	v_dot4c_i32_i8_e32 v153, v152, v36
	v_cvt_f32_f16_e32 v152, v28
	v_cvt_f32_f16_sdwa v28, v28 dst_sel:DWORD dst_unused:UNUSED_PAD src0_sel:WORD_1
	v_ashrrev_i32_e32 v29, v143, v29
	v_cvt_f32_i32_e32 v153, v153
	v_mul_f32_e32 v152, v2, v152
	v_mul_f32_e32 v28, v3, v28
	;; [unrolled: 1-line block ×3, first 2 shown]
	v_fma_f32 v153, v152, v153, v28
	v_add_f32_e32 v30, v30, v153
	v_lshrrev_b32_e32 v31, 4, v31
	v_lshlrev_b32_e32 v153, 4, v29
	v_lshlrev_b32_e32 v154, 11, v29
	;; [unrolled: 1-line block ×4, first 2 shown]
	v_and_b32_e32 v31, 0xf0f0f0f, v31
	v_and_b32_e32 v155, 0x100000, v155
	;; [unrolled: 1-line block ×5, first 2 shown]
	v_or3_b32 v29, v29, v31, v155
	v_or3_b32 v29, v29, v153, v154
	v_mov_b32_e32 v31, 0
	v_dot4c_i32_i8_e32 v31, v29, v37
	s_nop 2
	v_cvt_f32_i32_e32 v29, v31
	global_load_dword v31, v[18:19], off offset:56
	v_fmac_f32_e32 v28, v152, v29
	v_add_f32_e32 v30, v28, v30
	global_load_dwordx2 v[28:29], v[16:17], off offset:48
	s_waitcnt vmcnt(1)
	v_and_b32_e32 v152, 0xf0f0f0f, v31
	v_lshrrev_b32_e32 v31, 4, v31
	v_and_b32_e32 v31, 0xf0f0f0f, v31
	s_waitcnt vmcnt(0)
	v_ashrrev_i32_e32 v153, v32, v29
	v_lshlrev_b32_e32 v154, 4, v153
	v_lshlrev_b32_e32 v155, 11, v153
	;; [unrolled: 1-line block ×4, first 2 shown]
	v_and_b32_e32 v156, 0x100000, v156
	v_and_b32_e32 v153, 0x10000000, v153
	;; [unrolled: 1-line block ×4, first 2 shown]
	v_or3_b32 v152, v153, v152, v156
	v_or3_b32 v152, v152, v154, v155
	v_mov_b32_e32 v153, 0
	v_dot4c_i32_i8_e32 v153, v152, v38
	v_cvt_f32_f16_e32 v152, v28
	v_cvt_f32_f16_sdwa v28, v28 dst_sel:DWORD dst_unused:UNUSED_PAD src0_sel:WORD_1
	v_ashrrev_i32_e32 v29, v143, v29
	v_cvt_f32_i32_e32 v153, v153
	v_mul_f32_e32 v152, v4, v152
	v_mul_f32_e32 v28, v5, v28
	;; [unrolled: 1-line block ×3, first 2 shown]
	v_fma_f32 v153, v152, v153, v28
	v_add_f32_e32 v30, v30, v153
	v_lshlrev_b32_e32 v153, 4, v29
	v_lshlrev_b32_e32 v154, 11, v29
	;; [unrolled: 1-line block ×4, first 2 shown]
	v_and_b32_e32 v155, 0x100000, v155
	v_and_b32_e32 v29, 0x10000000, v29
	;; [unrolled: 1-line block ×4, first 2 shown]
	v_or3_b32 v29, v29, v31, v155
	v_or3_b32 v29, v29, v153, v154
	v_mov_b32_e32 v31, 0
	v_dot4c_i32_i8_e32 v31, v29, v39
	s_nop 2
	v_cvt_f32_i32_e32 v29, v31
	v_fmac_f32_e32 v28, v152, v29
	v_add_f32_e32 v31, v28, v30
	global_load_dword v152, v[18:19], off offset:80
	global_load_dwordx2 v[28:29], v[16:17], off offset:72
	s_waitcnt vmcnt(1)
	v_and_b32_e32 v30, 0xf0f0f0f, v152
	s_waitcnt vmcnt(0)
	v_ashrrev_i32_e32 v153, v32, v29
	v_lshlrev_b32_e32 v154, 4, v153
	v_lshlrev_b32_e32 v155, 11, v153
	v_lshlrev_b32_e32 v156, 18, v153
	v_lshlrev_b32_e32 v153, 25, v153
	v_and_b32_e32 v156, 0x100000, v156
	v_and_b32_e32 v153, 0x10000000, v153
	v_and_b32_e32 v154, 16, v154
	v_and_b32_e32 v155, 0x1000, v155
	v_or3_b32 v30, v153, v30, v156
	v_or3_b32 v30, v30, v154, v155
	v_mov_b32_e32 v153, 0
	v_dot4c_i32_i8_e32 v153, v30, v40
	v_cvt_f32_f16_e32 v30, v28
	v_cvt_f32_f16_sdwa v154, v28 dst_sel:DWORD dst_unused:UNUSED_PAD src0_sel:WORD_1
	v_ashrrev_i32_e32 v29, v143, v29
	v_lshrrev_b32_e32 v152, 4, v152
	v_mul_f32_e32 v28, v6, v30
	v_mul_f32_e32 v30, v7, v154
	v_lshlrev_b32_e32 v154, 4, v29
	v_lshlrev_b32_e32 v155, 11, v29
	v_lshlrev_b32_e32 v156, 18, v29
	v_lshlrev_b32_e32 v29, 25, v29
	v_and_b32_e32 v152, 0xf0f0f0f, v152
	v_and_b32_e32 v156, 0x100000, v156
	v_and_b32_e32 v29, 0x10000000, v29
	v_and_b32_e32 v154, 16, v154
	v_and_b32_e32 v155, 0x1000, v155
	v_or3_b32 v29, v29, v152, v156
	v_or3_b32 v29, v29, v154, v155
	v_mov_b32_e32 v152, 0
	v_dot4c_i32_i8_e32 v152, v29, v41
	v_cvt_f32_i32_e32 v153, v153
	v_mul_f32_e32 v30, 0x3e000000, v30
	s_nop 0
	v_cvt_f32_i32_e32 v152, v152
	v_pk_fma_f32 v[28:29], v[28:29], v[152:153], v[30:31] op_sel_hi:[0,1,0]
	v_add_f32_e32 v29, v31, v29
	v_add_f32_e32 v31, v28, v29
	global_load_dword v152, v[18:19], off offset:104
	global_load_dwordx2 v[28:29], v[16:17], off offset:96
	s_waitcnt vmcnt(1)
	v_and_b32_e32 v30, 0xf0f0f0f, v152
	s_waitcnt vmcnt(0)
	v_ashrrev_i32_e32 v153, v32, v29
	v_lshlrev_b32_e32 v154, 4, v153
	v_lshlrev_b32_e32 v155, 11, v153
	v_lshlrev_b32_e32 v156, 18, v153
	v_lshlrev_b32_e32 v153, 25, v153
	v_and_b32_e32 v156, 0x100000, v156
	v_and_b32_e32 v153, 0x10000000, v153
	v_and_b32_e32 v154, 16, v154
	v_and_b32_e32 v155, 0x1000, v155
	v_or3_b32 v30, v153, v30, v156
	v_or3_b32 v30, v30, v154, v155
	v_mov_b32_e32 v153, 0
	v_dot4c_i32_i8_e32 v153, v30, v42
	v_cvt_f32_f16_e32 v30, v28
	v_cvt_f32_f16_sdwa v154, v28 dst_sel:DWORD dst_unused:UNUSED_PAD src0_sel:WORD_1
	v_ashrrev_i32_e32 v29, v143, v29
	v_lshrrev_b32_e32 v152, 4, v152
	v_mul_f32_e32 v28, v8, v30
	v_mul_f32_e32 v30, v9, v154
	v_lshlrev_b32_e32 v154, 4, v29
	v_lshlrev_b32_e32 v155, 11, v29
	v_lshlrev_b32_e32 v156, 18, v29
	v_lshlrev_b32_e32 v29, 25, v29
	v_and_b32_e32 v152, 0xf0f0f0f, v152
	v_and_b32_e32 v156, 0x100000, v156
	v_and_b32_e32 v29, 0x10000000, v29
	v_and_b32_e32 v154, 16, v154
	v_and_b32_e32 v155, 0x1000, v155
	v_or3_b32 v29, v29, v152, v156
	v_or3_b32 v29, v29, v154, v155
	v_mov_b32_e32 v152, 0
	v_dot4c_i32_i8_e32 v152, v29, v43
	v_cvt_f32_i32_e32 v153, v153
	v_mul_f32_e32 v30, 0x3e000000, v30
	s_nop 0
	v_cvt_f32_i32_e32 v152, v152
	v_pk_fma_f32 v[28:29], v[28:29], v[152:153], v[30:31] op_sel_hi:[0,1,0]
	v_add_f32_e32 v29, v31, v29
	;; [unrolled: 44-line block ×3, first 2 shown]
	v_add_f32_e32 v31, v28, v29
	global_load_dword v152, v[18:19], off offset:152
	global_load_dwordx2 v[28:29], v[16:17], off offset:144
	s_waitcnt vmcnt(1)
	v_and_b32_e32 v30, 0xf0f0f0f, v152
	global_load_dword v19, v[18:19], off offset:176
	s_waitcnt vmcnt(1)
	v_ashrrev_i32_e32 v153, v32, v29
	global_load_dwordx2 v[16:17], v[16:17], off offset:168
	v_lshlrev_b32_e32 v154, 4, v153
	v_lshlrev_b32_e32 v155, 11, v153
	;; [unrolled: 1-line block ×4, first 2 shown]
	v_and_b32_e32 v156, 0x100000, v156
	v_and_b32_e32 v153, 0x10000000, v153
	;; [unrolled: 1-line block ×4, first 2 shown]
	v_or3_b32 v30, v153, v30, v156
	v_or3_b32 v30, v30, v154, v155
	v_mov_b32_e32 v153, 0
	v_dot4c_i32_i8_e32 v153, v30, v46
	v_cvt_f32_f16_e32 v30, v28
	v_cvt_f32_f16_sdwa v154, v28 dst_sel:DWORD dst_unused:UNUSED_PAD src0_sel:WORD_1
	v_ashrrev_i32_e32 v29, v143, v29
	v_lshrrev_b32_e32 v152, 4, v152
	v_mul_f32_e32 v28, v12, v30
	v_mul_f32_e32 v30, v13, v154
	v_lshlrev_b32_e32 v154, 4, v29
	v_lshlrev_b32_e32 v155, 11, v29
	;; [unrolled: 1-line block ×4, first 2 shown]
	v_and_b32_e32 v152, 0xf0f0f0f, v152
	v_and_b32_e32 v156, 0x100000, v156
	;; [unrolled: 1-line block ×5, first 2 shown]
	v_or3_b32 v29, v29, v152, v156
	v_or3_b32 v29, v29, v154, v155
	v_mov_b32_e32 v152, 0
	v_dot4c_i32_i8_e32 v152, v29, v47
	v_cvt_f32_i32_e32 v153, v153
	v_mul_f32_e32 v30, 0x3e000000, v30
	s_waitcnt vmcnt(1)
	v_and_b32_e32 v18, 0xf0f0f0f, v19
	v_cvt_f32_i32_e32 v152, v152
	v_lshrrev_b32_e32 v19, 4, v19
	v_and_b32_e32 v19, 0xf0f0f0f, v19
	v_pk_fma_f32 v[28:29], v[28:29], v[152:153], v[30:31] op_sel_hi:[0,1,0]
	v_add_f32_e32 v29, v31, v29
	v_add_f32_e32 v30, v28, v29
	s_waitcnt vmcnt(0)
	v_ashrrev_i32_e32 v28, v32, v17
	v_lshlrev_b32_e32 v29, 4, v28
	v_lshlrev_b32_e32 v31, 11, v28
	;; [unrolled: 1-line block ×4, first 2 shown]
	v_and_b32_e32 v152, 0x100000, v152
	v_and_b32_e32 v28, 0x10000000, v28
	;; [unrolled: 1-line block ×4, first 2 shown]
	v_or3_b32 v18, v28, v18, v152
	v_or3_b32 v18, v18, v29, v31
	v_mov_b32_e32 v28, 0
	v_dot4c_i32_i8_e32 v28, v18, v48
	v_cvt_f32_f16_e32 v18, v16
	v_cvt_f32_f16_sdwa v29, v16 dst_sel:DWORD dst_unused:UNUSED_PAD src0_sel:WORD_1
	v_ashrrev_i32_e32 v17, v143, v17
	v_lshlrev_b32_e32 v31, 11, v17
	v_mul_f32_e32 v16, v14, v18
	v_mul_f32_e32 v18, v15, v29
	v_lshlrev_b32_e32 v29, 4, v17
	v_lshlrev_b32_e32 v152, 18, v17
	;; [unrolled: 1-line block ×3, first 2 shown]
	v_and_b32_e32 v152, 0x100000, v152
	v_and_b32_e32 v17, 0x10000000, v17
	;; [unrolled: 1-line block ×4, first 2 shown]
	v_or3_b32 v17, v17, v19, v152
	v_or3_b32 v17, v17, v29, v31
	v_mov_b32_e32 v19, 0
	v_dot4c_i32_i8_e32 v19, v17, v49
	v_cvt_f32_i32_e32 v29, v28
	v_mul_f32_e32 v18, 0x3e000000, v18
	s_nop 0
	v_cvt_f32_i32_e32 v28, v19
	v_pk_fma_f32 v[16:17], v[16:17], v[28:29], v[18:19] op_sel_hi:[0,1,0]
	v_add_f32_e32 v17, v30, v17
	v_add_f32_e32 v16, v16, v17
	ds_bpermute_b32 v17, v137, v16
	s_waitcnt lgkmcnt(0)
	v_add_f32_e32 v16, v16, v17
	ds_bpermute_b32 v17, v138, v16
	s_waitcnt lgkmcnt(0)
	v_add_f32_e32 v28, v16, v17
	s_cbranch_vccnz .LBB23_21
; %bb.20:                               ;   in Loop: Header=BB23_15 Depth=1
	global_load_ushort v16, v26, s[18:19] offset:4
	s_waitcnt vmcnt(0)
	v_fma_mix_f32 v28, v132, v16, v28 op_sel_hi:[0,1,0]
.LBB23_21:                              ;   in Loop: Header=BB23_15 Depth=1
	v_lshl_add_u64 v[16:17], s[36:37], 0, v[58:59]
	v_lshl_add_u64 v[18:19], v[16:17], 0, v[32:33]
	global_load_dword v29, v[18:19], off offset:8
	global_load_dwordx2 v[30:31], v[16:17], off
	s_and_b64 vcc, exec, s[12:13]
	s_waitcnt vmcnt(1)
	v_and_b32_e32 v152, 0xf0f0f0f, v29
	s_waitcnt vmcnt(0)
	v_ashrrev_i32_e32 v153, v32, v31
	v_lshlrev_b32_e32 v154, 4, v153
	v_lshlrev_b32_e32 v155, 11, v153
	;; [unrolled: 1-line block ×4, first 2 shown]
	v_and_b32_e32 v156, 0x100000, v156
	v_and_b32_e32 v153, 0x10000000, v153
	;; [unrolled: 1-line block ×4, first 2 shown]
	v_or3_b32 v152, v153, v152, v156
	v_ashrrev_i32_e32 v31, v143, v31
	v_or3_b32 v152, v152, v154, v155
	v_lshrrev_b32_e32 v29, 4, v29
	v_lshlrev_b32_e32 v154, 4, v31
	v_lshlrev_b32_e32 v155, 11, v31
	;; [unrolled: 1-line block ×4, first 2 shown]
	v_mov_b32_e32 v153, 0
	v_and_b32_e32 v29, 0xf0f0f0f, v29
	v_and_b32_e32 v156, 0x100000, v156
	;; [unrolled: 1-line block ×3, first 2 shown]
	v_dot4c_i32_i8_e32 v153, v152, v34
	v_cvt_f32_f16_e32 v152, v30
	v_cvt_f32_f16_sdwa v30, v30 dst_sel:DWORD dst_unused:UNUSED_PAD src0_sel:WORD_1
	v_and_b32_e32 v154, 16, v154
	v_and_b32_e32 v155, 0x1000, v155
	v_or3_b32 v29, v31, v29, v156
	v_or3_b32 v29, v29, v154, v155
	v_mov_b32_e32 v31, 0
	v_cvt_f32_i32_e32 v153, v153
	v_dot4c_i32_i8_e32 v31, v29, v35
	v_mul_f32_e32 v30, v1, v30
	v_mul_f32_e32 v152, v0, v152
	;; [unrolled: 1-line block ×3, first 2 shown]
	v_cvt_f32_i32_e32 v29, v31
	v_fma_f32 v153, v152, v153, v30
	v_add_f32_e32 v153, 0, v153
	v_fmac_f32_e32 v30, v152, v29
	v_add_f32_e32 v29, v30, v153
	global_load_dword v152, v[18:19], off offset:32
	global_load_dwordx2 v[30:31], v[16:17], off offset:24
	s_waitcnt vmcnt(1)
	v_and_b32_e32 v153, 0xf0f0f0f, v152
	s_waitcnt vmcnt(0)
	v_ashrrev_i32_e32 v154, v32, v31
	v_lshlrev_b32_e32 v155, 4, v154
	v_lshlrev_b32_e32 v156, 11, v154
	;; [unrolled: 1-line block ×4, first 2 shown]
	v_and_b32_e32 v157, 0x100000, v157
	v_and_b32_e32 v154, 0x10000000, v154
	;; [unrolled: 1-line block ×4, first 2 shown]
	v_or3_b32 v153, v154, v153, v157
	v_or3_b32 v153, v153, v155, v156
	v_mov_b32_e32 v154, 0
	v_dot4c_i32_i8_e32 v154, v153, v36
	v_cvt_f32_f16_e32 v153, v30
	v_cvt_f32_f16_sdwa v30, v30 dst_sel:DWORD dst_unused:UNUSED_PAD src0_sel:WORD_1
	v_ashrrev_i32_e32 v31, v143, v31
	v_cvt_f32_i32_e32 v154, v154
	v_mul_f32_e32 v153, v2, v153
	v_mul_f32_e32 v30, v3, v30
	;; [unrolled: 1-line block ×3, first 2 shown]
	v_fma_f32 v154, v153, v154, v30
	v_add_f32_e32 v29, v29, v154
	v_lshrrev_b32_e32 v152, 4, v152
	v_lshlrev_b32_e32 v154, 4, v31
	v_lshlrev_b32_e32 v155, 11, v31
	;; [unrolled: 1-line block ×4, first 2 shown]
	v_and_b32_e32 v152, 0xf0f0f0f, v152
	v_and_b32_e32 v156, 0x100000, v156
	;; [unrolled: 1-line block ×5, first 2 shown]
	v_or3_b32 v31, v31, v152, v156
	v_or3_b32 v31, v31, v154, v155
	v_mov_b32_e32 v152, 0
	v_dot4c_i32_i8_e32 v152, v31, v37
	s_nop 2
	v_cvt_f32_i32_e32 v31, v152
	global_load_dword v152, v[18:19], off offset:56
	v_fmac_f32_e32 v30, v153, v31
	v_add_f32_e32 v29, v30, v29
	global_load_dwordx2 v[30:31], v[16:17], off offset:48
	s_waitcnt vmcnt(1)
	v_and_b32_e32 v153, 0xf0f0f0f, v152
	v_lshrrev_b32_e32 v152, 4, v152
	v_and_b32_e32 v152, 0xf0f0f0f, v152
	s_waitcnt vmcnt(0)
	v_ashrrev_i32_e32 v154, v32, v31
	v_lshlrev_b32_e32 v155, 4, v154
	v_lshlrev_b32_e32 v156, 11, v154
	;; [unrolled: 1-line block ×4, first 2 shown]
	v_and_b32_e32 v157, 0x100000, v157
	v_and_b32_e32 v154, 0x10000000, v154
	;; [unrolled: 1-line block ×4, first 2 shown]
	v_or3_b32 v153, v154, v153, v157
	v_or3_b32 v153, v153, v155, v156
	v_mov_b32_e32 v154, 0
	v_dot4c_i32_i8_e32 v154, v153, v38
	v_cvt_f32_f16_e32 v153, v30
	v_cvt_f32_f16_sdwa v30, v30 dst_sel:DWORD dst_unused:UNUSED_PAD src0_sel:WORD_1
	v_ashrrev_i32_e32 v31, v143, v31
	v_cvt_f32_i32_e32 v154, v154
	v_mul_f32_e32 v153, v4, v153
	v_mul_f32_e32 v30, v5, v30
	;; [unrolled: 1-line block ×3, first 2 shown]
	v_fma_f32 v154, v153, v154, v30
	v_add_f32_e32 v29, v29, v154
	v_lshlrev_b32_e32 v154, 4, v31
	v_lshlrev_b32_e32 v155, 11, v31
	;; [unrolled: 1-line block ×4, first 2 shown]
	v_and_b32_e32 v156, 0x100000, v156
	v_and_b32_e32 v31, 0x10000000, v31
	;; [unrolled: 1-line block ×4, first 2 shown]
	v_or3_b32 v31, v31, v152, v156
	v_or3_b32 v31, v31, v154, v155
	v_mov_b32_e32 v152, 0
	v_dot4c_i32_i8_e32 v152, v31, v39
	s_nop 2
	v_cvt_f32_i32_e32 v31, v152
	v_fmac_f32_e32 v30, v153, v31
	v_add_f32_e32 v29, v30, v29
	global_load_dword v153, v[18:19], off offset:80
	global_load_dwordx2 v[30:31], v[16:17], off offset:72
	s_waitcnt vmcnt(1)
	v_and_b32_e32 v152, 0xf0f0f0f, v153
	s_waitcnt vmcnt(0)
	v_ashrrev_i32_e32 v154, v32, v31
	v_lshlrev_b32_e32 v155, 4, v154
	v_lshlrev_b32_e32 v156, 11, v154
	v_lshlrev_b32_e32 v157, 18, v154
	v_lshlrev_b32_e32 v154, 25, v154
	v_and_b32_e32 v157, 0x100000, v157
	v_and_b32_e32 v154, 0x10000000, v154
	v_and_b32_e32 v155, 16, v155
	v_and_b32_e32 v156, 0x1000, v156
	v_or3_b32 v152, v154, v152, v157
	v_or3_b32 v152, v152, v155, v156
	v_mov_b32_e32 v154, 0
	v_dot4c_i32_i8_e32 v154, v152, v40
	v_cvt_f32_f16_e32 v152, v30
	v_cvt_f32_f16_sdwa v155, v30 dst_sel:DWORD dst_unused:UNUSED_PAD src0_sel:WORD_1
	v_ashrrev_i32_e32 v31, v143, v31
	v_lshrrev_b32_e32 v153, 4, v153
	v_mul_f32_e32 v30, v6, v152
	v_mul_f32_e32 v152, v7, v155
	v_lshlrev_b32_e32 v155, 4, v31
	v_lshlrev_b32_e32 v156, 11, v31
	v_lshlrev_b32_e32 v157, 18, v31
	v_lshlrev_b32_e32 v31, 25, v31
	v_and_b32_e32 v153, 0xf0f0f0f, v153
	v_and_b32_e32 v157, 0x100000, v157
	v_and_b32_e32 v31, 0x10000000, v31
	v_and_b32_e32 v155, 16, v155
	v_and_b32_e32 v156, 0x1000, v156
	v_or3_b32 v31, v31, v153, v157
	v_or3_b32 v31, v31, v155, v156
	v_mov_b32_e32 v153, 0
	v_dot4c_i32_i8_e32 v153, v31, v41
	v_cvt_f32_i32_e32 v155, v154
	v_mul_f32_e32 v152, 0x3e000000, v152
	s_nop 0
	v_cvt_f32_i32_e32 v154, v153
	v_pk_fma_f32 v[30:31], v[30:31], v[154:155], v[152:153] op_sel_hi:[0,1,0]
	v_add_f32_e32 v29, v29, v31
	v_add_f32_e32 v29, v30, v29
	global_load_dword v153, v[18:19], off offset:104
	global_load_dwordx2 v[30:31], v[16:17], off offset:96
	s_waitcnt vmcnt(1)
	v_and_b32_e32 v152, 0xf0f0f0f, v153
	s_waitcnt vmcnt(0)
	v_ashrrev_i32_e32 v154, v32, v31
	v_lshlrev_b32_e32 v155, 4, v154
	v_lshlrev_b32_e32 v156, 11, v154
	v_lshlrev_b32_e32 v157, 18, v154
	v_lshlrev_b32_e32 v154, 25, v154
	v_and_b32_e32 v157, 0x100000, v157
	v_and_b32_e32 v154, 0x10000000, v154
	v_and_b32_e32 v155, 16, v155
	v_and_b32_e32 v156, 0x1000, v156
	v_or3_b32 v152, v154, v152, v157
	v_or3_b32 v152, v152, v155, v156
	v_mov_b32_e32 v154, 0
	v_dot4c_i32_i8_e32 v154, v152, v42
	v_cvt_f32_f16_e32 v152, v30
	v_cvt_f32_f16_sdwa v155, v30 dst_sel:DWORD dst_unused:UNUSED_PAD src0_sel:WORD_1
	v_ashrrev_i32_e32 v31, v143, v31
	v_lshrrev_b32_e32 v153, 4, v153
	v_mul_f32_e32 v30, v8, v152
	v_mul_f32_e32 v152, v9, v155
	v_lshlrev_b32_e32 v155, 4, v31
	v_lshlrev_b32_e32 v156, 11, v31
	v_lshlrev_b32_e32 v157, 18, v31
	v_lshlrev_b32_e32 v31, 25, v31
	v_and_b32_e32 v153, 0xf0f0f0f, v153
	v_and_b32_e32 v157, 0x100000, v157
	v_and_b32_e32 v31, 0x10000000, v31
	v_and_b32_e32 v155, 16, v155
	v_and_b32_e32 v156, 0x1000, v156
	v_or3_b32 v31, v31, v153, v157
	v_or3_b32 v31, v31, v155, v156
	v_mov_b32_e32 v153, 0
	v_dot4c_i32_i8_e32 v153, v31, v43
	v_cvt_f32_i32_e32 v155, v154
	v_mul_f32_e32 v152, 0x3e000000, v152
	s_nop 0
	v_cvt_f32_i32_e32 v154, v153
	v_pk_fma_f32 v[30:31], v[30:31], v[154:155], v[152:153] op_sel_hi:[0,1,0]
	v_add_f32_e32 v29, v29, v31
	;; [unrolled: 44-line block ×3, first 2 shown]
	v_add_f32_e32 v29, v30, v29
	global_load_dword v153, v[18:19], off offset:152
	global_load_dwordx2 v[30:31], v[16:17], off offset:144
	s_waitcnt vmcnt(1)
	v_and_b32_e32 v152, 0xf0f0f0f, v153
	global_load_dword v19, v[18:19], off offset:176
	s_waitcnt vmcnt(1)
	v_ashrrev_i32_e32 v154, v32, v31
	global_load_dwordx2 v[16:17], v[16:17], off offset:168
	v_lshlrev_b32_e32 v155, 4, v154
	v_lshlrev_b32_e32 v156, 11, v154
	;; [unrolled: 1-line block ×4, first 2 shown]
	v_and_b32_e32 v157, 0x100000, v157
	v_and_b32_e32 v154, 0x10000000, v154
	;; [unrolled: 1-line block ×4, first 2 shown]
	v_or3_b32 v152, v154, v152, v157
	v_or3_b32 v152, v152, v155, v156
	v_mov_b32_e32 v154, 0
	v_dot4c_i32_i8_e32 v154, v152, v46
	v_cvt_f32_f16_e32 v152, v30
	v_cvt_f32_f16_sdwa v155, v30 dst_sel:DWORD dst_unused:UNUSED_PAD src0_sel:WORD_1
	v_ashrrev_i32_e32 v31, v143, v31
	v_lshrrev_b32_e32 v153, 4, v153
	v_mul_f32_e32 v30, v12, v152
	v_mul_f32_e32 v152, v13, v155
	v_lshlrev_b32_e32 v155, 4, v31
	v_lshlrev_b32_e32 v156, 11, v31
	;; [unrolled: 1-line block ×4, first 2 shown]
	v_and_b32_e32 v153, 0xf0f0f0f, v153
	v_and_b32_e32 v157, 0x100000, v157
	;; [unrolled: 1-line block ×5, first 2 shown]
	v_or3_b32 v31, v31, v153, v157
	v_or3_b32 v31, v31, v155, v156
	v_mov_b32_e32 v153, 0
	v_dot4c_i32_i8_e32 v153, v31, v47
	v_cvt_f32_i32_e32 v155, v154
	v_mul_f32_e32 v152, 0x3e000000, v152
	s_waitcnt vmcnt(1)
	v_and_b32_e32 v18, 0xf0f0f0f, v19
	v_cvt_f32_i32_e32 v154, v153
	v_lshrrev_b32_e32 v19, 4, v19
	v_and_b32_e32 v19, 0xf0f0f0f, v19
	v_pk_fma_f32 v[30:31], v[30:31], v[154:155], v[152:153] op_sel_hi:[0,1,0]
	v_add_f32_e32 v29, v29, v31
	v_add_f32_e32 v29, v30, v29
	s_waitcnt vmcnt(0)
	v_ashrrev_i32_e32 v30, v32, v17
	v_lshlrev_b32_e32 v31, 4, v30
	v_lshlrev_b32_e32 v152, 11, v30
	;; [unrolled: 1-line block ×4, first 2 shown]
	v_and_b32_e32 v153, 0x100000, v153
	v_and_b32_e32 v30, 0x10000000, v30
	;; [unrolled: 1-line block ×4, first 2 shown]
	v_or3_b32 v18, v30, v18, v153
	v_or3_b32 v18, v18, v31, v152
	v_mov_b32_e32 v30, 0
	v_dot4c_i32_i8_e32 v30, v18, v48
	v_cvt_f32_f16_e32 v18, v16
	v_cvt_f32_f16_sdwa v31, v16 dst_sel:DWORD dst_unused:UNUSED_PAD src0_sel:WORD_1
	v_ashrrev_i32_e32 v17, v143, v17
	v_lshlrev_b32_e32 v152, 11, v17
	v_mul_f32_e32 v16, v14, v18
	v_mul_f32_e32 v18, v15, v31
	v_lshlrev_b32_e32 v31, 4, v17
	v_lshlrev_b32_e32 v153, 18, v17
	;; [unrolled: 1-line block ×3, first 2 shown]
	v_and_b32_e32 v153, 0x100000, v153
	v_and_b32_e32 v17, 0x10000000, v17
	;; [unrolled: 1-line block ×4, first 2 shown]
	v_or3_b32 v17, v17, v19, v153
	v_or3_b32 v17, v17, v31, v152
	v_mov_b32_e32 v19, 0
	v_dot4c_i32_i8_e32 v19, v17, v49
	v_cvt_f32_i32_e32 v31, v30
	v_mul_f32_e32 v18, 0x3e000000, v18
	s_nop 0
	v_cvt_f32_i32_e32 v30, v19
	v_pk_fma_f32 v[16:17], v[16:17], v[30:31], v[18:19] op_sel_hi:[0,1,0]
	v_add_f32_e32 v17, v29, v17
	v_add_f32_e32 v16, v16, v17
	ds_bpermute_b32 v17, v137, v16
	s_waitcnt lgkmcnt(0)
	v_add_f32_e32 v16, v16, v17
	ds_bpermute_b32 v17, v138, v16
	s_waitcnt lgkmcnt(0)
	v_add_f32_e32 v16, v16, v17
	s_cbranch_vccnz .LBB23_23
; %bb.22:                               ;   in Loop: Header=BB23_15 Depth=1
	global_load_ushort v17, v26, s[18:19] offset:6
	s_waitcnt vmcnt(0)
	v_fma_mix_f32 v16, v132, v17, v16 op_sel_hi:[0,1,0]
.LBB23_23:                              ;   in Loop: Header=BB23_15 Depth=1
	v_add_f32_e32 v17, 0x40051340, v25
	v_add_f32_e32 v19, 0x40051340, v27
	v_cndmask_b32_e64 v18, v151, v25, s[6:7]
	v_max3_f32 v17, v24, v17, v19
	v_add_f32_e32 v19, 0x40051340, v28
	v_add_f32_e32 v25, 0x40051340, v16
	v_max3_f32 v17, v17, v19, v25
	ds_bpermute_b32 v19, v139, v17
	v_cndmask_b32_e64 v18, v18, v27, s[8:9]
	v_cndmask_b32_e64 v18, v18, v28, s[10:11]
	;; [unrolled: 1-line block ×3, first 2 shown]
	v_lshl_add_u64 v[154:155], s[20:21], 0, v[60:61]
	s_waitcnt lgkmcnt(0)
	v_max_f32_e32 v19, v19, v19
	v_max_f32_e32 v17, v17, v19
	ds_bpermute_b32 v19, v140, v17
	v_mad_u64_u32 v[156:157], s[12:13], v130, 24, v[154:155]
	v_lshl_add_u64 v[158:159], v[156:157], 0, v[62:63]
	v_mad_u64_u32 v[154:155], s[12:13], v128, 24, v[154:155]
	s_waitcnt lgkmcnt(0)
	v_max_f32_e32 v19, v19, v19
	v_max_f32_e32 v17, v17, v19
	ds_bpermute_b32 v19, v141, v17
	s_add_i32 s16, s26, s16
	s_add_u32 s36, s36, s17
	s_addc_u32 s37, s37, 0
	s_waitcnt lgkmcnt(0)
	v_max_f32_e32 v19, v19, v19
	v_max_f32_e32 v152, v17, v19
	v_sub_f32_e32 v17, v24, v152
	v_mul_f32_e32 v18, 0x3fb8aa3b, v17
	v_fma_f32 v19, v17, s43, -v18
	v_rndne_f32_e32 v24, v18
	v_fmac_f32_e32 v19, 0x32a5705f, v17
	v_sub_f32_e32 v18, v18, v24
	v_add_f32_e32 v18, v18, v19
	v_exp_f32_e32 v18, v18
	v_cvt_i32_f32_e32 v19, v24
	v_cmp_ngt_f32_e32 vcc, s44, v17
	v_sub_f32_e32 v16, v16, v152
	v_ldexp_f32 v18, v18, v19
	v_cndmask_b32_e32 v18, 0, v18, vcc
	v_cmp_nlt_f32_e32 vcc, s45, v17
	s_nop 1
	v_cndmask_b32_e32 v17, v149, v18, vcc
	v_mul_f32_e32 v18, 0x3fb8aa3b, v16
	v_fma_f32 v19, v16, s43, -v18
	v_rndne_f32_e32 v24, v18
	v_fmac_f32_e32 v19, 0x32a5705f, v16
	v_sub_f32_e32 v18, v18, v24
	v_add_f32_e32 v18, v18, v19
	v_exp_f32_e32 v18, v18
	v_cvt_i32_f32_e32 v19, v24
	v_cmp_ngt_f32_e32 vcc, s44, v16
	v_ldexp_f32 v18, v18, v19
	s_nop 0
	v_cndmask_b32_e32 v18, 0, v18, vcc
	v_cmp_nlt_f32_e32 vcc, s45, v16
	v_cvt_f16_f32_e32 v16, v17
	v_mul_u32_u24_e32 v16, 0x10001, v16
	v_cndmask_b32_e32 v151, v149, v18, vcc
	v_pk_mul_f16 v153, v20, v16
	v_pk_mul_f16 v160, v21, v16
	;; [unrolled: 1-line block ×4, first 2 shown]
	v_cvt_f16_f32_e32 v16, v151
	v_fma_f32 v136, v136, v17, v151
	ds_write_b16 v134, v16
	ds_read_b128 v[28:31], v142
	ds_read_b128 v[24:27], v142 offset:16
	ds_read_b128 v[20:23], v142 offset:32
	;; [unrolled: 1-line block ×3, first 2 shown]
	global_load_dword v158, v[158:159], off offset:8
	s_waitcnt lgkmcnt(3)
	v_mul_u32_u24_sdwa v163, v28, s46 dst_sel:DWORD dst_unused:UNUSED_PAD src0_sel:WORD_0 src1_sel:DWORD
	global_load_dwordx2 v[156:157], v[156:157], off
	v_mul_u32_u24_sdwa v28, v28, s46 dst_sel:DWORD dst_unused:UNUSED_PAD src0_sel:WORD_1 src1_sel:DWORD
	s_waitcnt vmcnt(1)
	v_ashrrev_i32_e32 v158, v145, v158
	v_and_b32_e32 v158, 0xf0f0f0f, v158
	s_waitcnt vmcnt(0)
	v_lshrrev_b32_e32 v159, v144, v157
	v_lshlrev_b32_e32 v159, 4, v159
	v_and_or_b32 v158, v159, 16, v158
	v_lshrrev_b32_e32 v159, v146, v157
	v_lshrrev_b32_e32 v164, v147, v157
	;; [unrolled: 1-line block ×3, first 2 shown]
	v_lshlrev_b32_e32 v159, 12, v159
	v_lshlrev_b32_e32 v164, 20, v164
	;; [unrolled: 1-line block ×3, first 2 shown]
	v_and_or_b32 v159, v159, s38, v158
	v_and_b32_e32 v164, 0x100000, v164
	v_and_b32_e32 v157, 0x10000000, v157
	v_or3_b32 v157, v164, v157, v159
	v_lshrrev_b32_e32 v159, 8, v159
	v_and_b32_e32 v158, 31, v158
	v_and_b32_e32 v159, 31, v159
	v_cvt_f16_u16_e32 v158, v158
	v_cvt_f16_u16_e32 v159, v159
	v_pack_b32_f16 v158, v158, v159
	v_and_b32_sdwa v159, v157, v150 dst_sel:DWORD dst_unused:UNUSED_PAD src0_sel:WORD_1 src1_sel:DWORD
	v_cvt_f16_u16_sdwa v157, v157 dst_sel:DWORD dst_unused:UNUSED_PAD src0_sel:BYTE_3
	v_cvt_f16_u16_e32 v159, v159
	v_mul_u32_u24_sdwa v164, v156, s46 dst_sel:DWORD dst_unused:UNUSED_PAD src0_sel:WORD_0 src1_sel:DWORD
	v_mul_u32_u24_sdwa v156, v156, s46 dst_sel:DWORD dst_unused:UNUSED_PAD src0_sel:WORD_1 src1_sel:DWORD
	v_pack_b32_f16 v157, v159, v157
	v_pk_fma_f16 v158, v158, v164, v156
	v_pk_fma_f16 v156, v157, v164, v156
	;; [unrolled: 1-line block ×4, first 2 shown]
	v_lshl_add_u64 v[156:157], v[154:155], 0, v[64:65]
	global_load_dword v156, v[156:157], off offset:8
	s_nop 0
	global_load_dwordx2 v[154:155], v[154:155], off
	s_waitcnt vmcnt(1)
	v_ashrrev_i32_e32 v156, v145, v156
	v_and_b32_e32 v156, 0xf0f0f0f, v156
	s_waitcnt vmcnt(0)
	v_lshrrev_b32_e32 v157, v144, v155
	v_lshlrev_b32_e32 v157, 4, v157
	v_and_or_b32 v156, v157, 16, v156
	v_lshrrev_b32_e32 v157, v146, v155
	v_lshrrev_b32_e32 v158, v147, v155
	;; [unrolled: 1-line block ×3, first 2 shown]
	v_lshlrev_b32_e32 v157, 12, v157
	v_lshlrev_b32_e32 v158, 20, v158
	;; [unrolled: 1-line block ×3, first 2 shown]
	v_and_or_b32 v157, v157, s38, v156
	v_and_b32_e32 v158, 0x100000, v158
	v_and_b32_e32 v155, 0x10000000, v155
	v_or3_b32 v155, v158, v155, v157
	v_lshrrev_b32_e32 v157, 8, v157
	v_and_b32_e32 v156, 31, v156
	v_and_b32_e32 v157, 31, v157
	v_cvt_f16_u16_e32 v156, v156
	v_cvt_f16_u16_e32 v157, v157
	v_pack_b32_f16 v156, v156, v157
	v_and_b32_sdwa v157, v155, v150 dst_sel:DWORD dst_unused:UNUSED_PAD src0_sel:WORD_1 src1_sel:DWORD
	v_cvt_f16_u16_sdwa v155, v155 dst_sel:DWORD dst_unused:UNUSED_PAD src0_sel:BYTE_3
	v_cvt_f16_u16_e32 v157, v157
	v_mul_u32_u24_sdwa v158, v154, s46 dst_sel:DWORD dst_unused:UNUSED_PAD src0_sel:WORD_0 src1_sel:DWORD
	v_mul_u32_u24_sdwa v154, v154, s46 dst_sel:DWORD dst_unused:UNUSED_PAD src0_sel:WORD_1 src1_sel:DWORD
	v_pack_b32_f16 v155, v157, v155
	v_pk_fma_f16 v156, v156, v158, v154
	v_pk_fma_f16 v154, v155, v158, v154
	;; [unrolled: 1-line block ×4, first 2 shown]
	v_lshl_add_u64 v[154:155], s[20:21], 0, v[66:67]
	v_mad_u64_u32 v[156:157], s[12:13], v130, 24, v[154:155]
	v_lshl_add_u64 v[158:159], v[156:157], 0, v[62:63]
	global_load_dword v158, v[158:159], off offset:8
	v_mad_u64_u32 v[154:155], s[12:13], v128, 24, v[154:155]
	global_load_dwordx2 v[156:157], v[156:157], off
	s_waitcnt vmcnt(1)
	v_ashrrev_i32_e32 v158, v145, v158
	v_and_b32_e32 v158, 0xf0f0f0f, v158
	s_waitcnt vmcnt(0)
	v_lshrrev_b32_e32 v159, v144, v157
	v_lshlrev_b32_e32 v159, 4, v159
	v_and_or_b32 v158, v159, 16, v158
	v_lshrrev_b32_e32 v159, v146, v157
	v_lshrrev_b32_e32 v163, v147, v157
	;; [unrolled: 1-line block ×3, first 2 shown]
	v_lshlrev_b32_e32 v159, 12, v159
	v_lshlrev_b32_e32 v163, 20, v163
	;; [unrolled: 1-line block ×3, first 2 shown]
	v_and_or_b32 v159, v159, s38, v158
	v_and_b32_e32 v163, 0x100000, v163
	v_and_b32_e32 v157, 0x10000000, v157
	v_or3_b32 v157, v163, v157, v159
	v_lshrrev_b32_e32 v159, 8, v159
	v_and_b32_e32 v158, 31, v158
	v_and_b32_e32 v159, 31, v159
	v_cvt_f16_u16_e32 v158, v158
	v_cvt_f16_u16_e32 v159, v159
	v_pack_b32_f16 v158, v158, v159
	v_and_b32_sdwa v159, v157, v150 dst_sel:DWORD dst_unused:UNUSED_PAD src0_sel:WORD_1 src1_sel:DWORD
	v_cvt_f16_u16_sdwa v157, v157 dst_sel:DWORD dst_unused:UNUSED_PAD src0_sel:BYTE_3
	v_cvt_f16_u16_e32 v159, v159
	v_mul_u32_u24_sdwa v163, v156, s46 dst_sel:DWORD dst_unused:UNUSED_PAD src0_sel:WORD_0 src1_sel:DWORD
	v_mul_u32_u24_sdwa v156, v156, s46 dst_sel:DWORD dst_unused:UNUSED_PAD src0_sel:WORD_1 src1_sel:DWORD
	v_pack_b32_f16 v157, v159, v157
	v_pk_fma_f16 v158, v158, v163, v156
	v_pk_fma_f16 v156, v157, v163, v156
	;; [unrolled: 1-line block ×4, first 2 shown]
	v_lshl_add_u64 v[156:157], v[154:155], 0, v[64:65]
	global_load_dword v156, v[156:157], off offset:8
	s_nop 0
	global_load_dwordx2 v[154:155], v[154:155], off
	s_waitcnt vmcnt(1)
	v_ashrrev_i32_e32 v156, v145, v156
	v_and_b32_e32 v156, 0xf0f0f0f, v156
	s_waitcnt vmcnt(0)
	v_lshrrev_b32_e32 v157, v144, v155
	v_lshlrev_b32_e32 v157, 4, v157
	v_and_or_b32 v156, v157, 16, v156
	v_lshrrev_b32_e32 v157, v146, v155
	v_lshrrev_b32_e32 v158, v147, v155
	v_lshrrev_b32_e32 v155, v148, v155
	v_lshlrev_b32_e32 v157, 12, v157
	v_lshlrev_b32_e32 v158, 20, v158
	;; [unrolled: 1-line block ×3, first 2 shown]
	v_and_or_b32 v157, v157, s38, v156
	v_and_b32_e32 v158, 0x100000, v158
	v_and_b32_e32 v155, 0x10000000, v155
	v_or3_b32 v155, v158, v155, v157
	v_lshrrev_b32_e32 v157, 8, v157
	v_and_b32_e32 v156, 31, v156
	v_and_b32_e32 v157, 31, v157
	v_cvt_f16_u16_e32 v156, v156
	v_cvt_f16_u16_e32 v157, v157
	v_pack_b32_f16 v156, v156, v157
	v_and_b32_sdwa v157, v155, v150 dst_sel:DWORD dst_unused:UNUSED_PAD src0_sel:WORD_1 src1_sel:DWORD
	v_cvt_f16_u16_sdwa v155, v155 dst_sel:DWORD dst_unused:UNUSED_PAD src0_sel:BYTE_3
	v_cvt_f16_u16_e32 v157, v157
	v_mul_u32_u24_sdwa v158, v154, s46 dst_sel:DWORD dst_unused:UNUSED_PAD src0_sel:WORD_0 src1_sel:DWORD
	v_mul_u32_u24_sdwa v154, v154, s46 dst_sel:DWORD dst_unused:UNUSED_PAD src0_sel:WORD_1 src1_sel:DWORD
	v_pack_b32_f16 v155, v157, v155
	v_pk_fma_f16 v156, v156, v158, v154
	v_pk_fma_f16 v154, v155, v158, v154
	;; [unrolled: 1-line block ×4, first 2 shown]
	v_lshl_add_u64 v[154:155], s[20:21], 0, v[68:69]
	v_mad_u64_u32 v[156:157], s[12:13], v130, 24, v[154:155]
	v_lshl_add_u64 v[158:159], v[156:157], 0, v[62:63]
	global_load_dword v158, v[158:159], off offset:8
	v_mul_u32_u24_sdwa v162, v29, s46 dst_sel:DWORD dst_unused:UNUSED_PAD src0_sel:WORD_0 src1_sel:DWORD
	global_load_dwordx2 v[156:157], v[156:157], off
	v_mad_u64_u32 v[154:155], s[12:13], v128, 24, v[154:155]
	s_waitcnt vmcnt(1)
	v_ashrrev_i32_e32 v158, v145, v158
	v_and_b32_e32 v158, 0xf0f0f0f, v158
	s_waitcnt vmcnt(0)
	v_lshrrev_b32_e32 v159, v144, v157
	v_lshlrev_b32_e32 v159, 4, v159
	v_and_or_b32 v158, v159, 16, v158
	v_lshrrev_b32_e32 v159, v146, v157
	v_lshrrev_b32_e32 v163, v147, v157
	;; [unrolled: 1-line block ×3, first 2 shown]
	v_lshlrev_b32_e32 v159, 12, v159
	v_lshlrev_b32_e32 v163, 20, v163
	;; [unrolled: 1-line block ×3, first 2 shown]
	v_and_or_b32 v159, v159, s38, v158
	v_and_b32_e32 v163, 0x100000, v163
	v_and_b32_e32 v157, 0x10000000, v157
	v_or3_b32 v157, v163, v157, v159
	v_lshrrev_b32_e32 v159, 8, v159
	v_and_b32_e32 v158, 31, v158
	v_and_b32_e32 v159, 31, v159
	v_cvt_f16_u16_e32 v158, v158
	v_cvt_f16_u16_e32 v159, v159
	v_pack_b32_f16 v158, v158, v159
	v_and_b32_sdwa v159, v157, v150 dst_sel:DWORD dst_unused:UNUSED_PAD src0_sel:WORD_1 src1_sel:DWORD
	v_cvt_f16_u16_sdwa v157, v157 dst_sel:DWORD dst_unused:UNUSED_PAD src0_sel:BYTE_3
	v_cvt_f16_u16_e32 v159, v159
	v_mul_u32_u24_sdwa v163, v156, s46 dst_sel:DWORD dst_unused:UNUSED_PAD src0_sel:WORD_0 src1_sel:DWORD
	v_mul_u32_u24_sdwa v156, v156, s46 dst_sel:DWORD dst_unused:UNUSED_PAD src0_sel:WORD_1 src1_sel:DWORD
	v_pack_b32_f16 v157, v159, v157
	v_pk_fma_f16 v158, v158, v163, v156
	v_pk_fma_f16 v156, v157, v163, v156
	;; [unrolled: 1-line block ×4, first 2 shown]
	v_lshl_add_u64 v[156:157], v[154:155], 0, v[64:65]
	global_load_dword v156, v[156:157], off offset:8
	s_nop 0
	global_load_dwordx2 v[154:155], v[154:155], off
	s_waitcnt vmcnt(1)
	v_ashrrev_i32_e32 v156, v145, v156
	v_and_b32_e32 v156, 0xf0f0f0f, v156
	s_waitcnt vmcnt(0)
	v_lshrrev_b32_e32 v157, v144, v155
	v_lshlrev_b32_e32 v157, 4, v157
	v_and_or_b32 v156, v157, 16, v156
	v_lshrrev_b32_e32 v157, v146, v155
	v_lshrrev_b32_e32 v159, v147, v155
	;; [unrolled: 1-line block ×3, first 2 shown]
	v_lshlrev_b32_e32 v157, 12, v157
	v_lshlrev_b32_e32 v159, 20, v159
	;; [unrolled: 1-line block ×3, first 2 shown]
	v_and_or_b32 v157, v157, s38, v156
	v_and_b32_e32 v159, 0x100000, v159
	v_and_b32_e32 v155, 0x10000000, v155
	v_or3_b32 v155, v159, v155, v157
	v_lshrrev_b32_e32 v157, 8, v157
	v_and_b32_e32 v156, 31, v156
	v_and_b32_e32 v157, 31, v157
	v_cvt_f16_u16_e32 v156, v156
	v_cvt_f16_u16_e32 v157, v157
	v_pack_b32_f16 v156, v156, v157
	v_and_b32_sdwa v157, v155, v150 dst_sel:DWORD dst_unused:UNUSED_PAD src0_sel:WORD_1 src1_sel:DWORD
	v_cvt_f16_u16_sdwa v155, v155 dst_sel:DWORD dst_unused:UNUSED_PAD src0_sel:BYTE_3
	v_cvt_f16_u16_e32 v157, v157
	v_mul_u32_u24_sdwa v159, v154, s46 dst_sel:DWORD dst_unused:UNUSED_PAD src0_sel:WORD_0 src1_sel:DWORD
	v_mul_u32_u24_sdwa v154, v154, s46 dst_sel:DWORD dst_unused:UNUSED_PAD src0_sel:WORD_1 src1_sel:DWORD
	v_pack_b32_f16 v155, v157, v155
	v_pk_fma_f16 v156, v156, v159, v154
	v_pk_fma_f16 v154, v155, v159, v154
	;; [unrolled: 1-line block ×4, first 2 shown]
	v_mul_u32_u24_sdwa v161, v29, s46 dst_sel:DWORD dst_unused:UNUSED_PAD src0_sel:WORD_1 src1_sel:DWORD
	v_lshl_add_u64 v[28:29], s[20:21], 0, v[70:71]
	v_mad_u64_u32 v[154:155], s[12:13], v130, 24, v[28:29]
	v_lshl_add_u64 v[156:157], v[154:155], 0, v[62:63]
	global_load_dword v156, v[156:157], off offset:8
	v_mad_u64_u32 v[28:29], s[12:13], v128, 24, v[28:29]
	global_load_dwordx2 v[154:155], v[154:155], off
	s_waitcnt vmcnt(1)
	v_ashrrev_i32_e32 v156, v145, v156
	v_and_b32_e32 v156, 0xf0f0f0f, v156
	s_waitcnt vmcnt(0)
	v_lshrrev_b32_e32 v157, v144, v155
	v_lshlrev_b32_e32 v157, 4, v157
	v_and_or_b32 v156, v157, 16, v156
	v_lshrrev_b32_e32 v157, v146, v155
	v_lshrrev_b32_e32 v162, v147, v155
	;; [unrolled: 1-line block ×3, first 2 shown]
	v_lshlrev_b32_e32 v157, 12, v157
	v_lshlrev_b32_e32 v162, 20, v162
	;; [unrolled: 1-line block ×3, first 2 shown]
	v_and_or_b32 v157, v157, s38, v156
	v_and_b32_e32 v162, 0x100000, v162
	v_and_b32_e32 v155, 0x10000000, v155
	v_or3_b32 v155, v162, v155, v157
	v_lshrrev_b32_e32 v157, 8, v157
	v_and_b32_e32 v156, 31, v156
	v_and_b32_e32 v157, 31, v157
	v_cvt_f16_u16_e32 v156, v156
	v_cvt_f16_u16_e32 v157, v157
	v_pack_b32_f16 v156, v156, v157
	v_and_b32_sdwa v157, v155, v150 dst_sel:DWORD dst_unused:UNUSED_PAD src0_sel:WORD_1 src1_sel:DWORD
	v_cvt_f16_u16_sdwa v155, v155 dst_sel:DWORD dst_unused:UNUSED_PAD src0_sel:BYTE_3
	v_cvt_f16_u16_e32 v157, v157
	v_mul_u32_u24_sdwa v162, v154, s46 dst_sel:DWORD dst_unused:UNUSED_PAD src0_sel:WORD_0 src1_sel:DWORD
	v_mul_u32_u24_sdwa v154, v154, s46 dst_sel:DWORD dst_unused:UNUSED_PAD src0_sel:WORD_1 src1_sel:DWORD
	v_pack_b32_f16 v155, v157, v155
	v_pk_fma_f16 v156, v156, v162, v154
	v_pk_fma_f16 v154, v155, v162, v154
	;; [unrolled: 1-line block ×4, first 2 shown]
	v_lshl_add_u64 v[154:155], v[28:29], 0, v[64:65]
	global_load_dword v154, v[154:155], off offset:8
	s_nop 0
	global_load_dwordx2 v[28:29], v[28:29], off
	s_waitcnt vmcnt(1)
	v_ashrrev_i32_e32 v154, v145, v154
	v_and_b32_e32 v154, 0xf0f0f0f, v154
	s_waitcnt vmcnt(0)
	v_lshrrev_b32_e32 v155, v144, v29
	v_lshlrev_b32_e32 v155, 4, v155
	v_and_or_b32 v154, v155, 16, v154
	v_lshrrev_b32_e32 v155, v146, v29
	v_lshrrev_b32_e32 v156, v147, v29
	;; [unrolled: 1-line block ×3, first 2 shown]
	v_lshlrev_b32_e32 v155, 12, v155
	v_lshlrev_b32_e32 v156, 20, v156
	;; [unrolled: 1-line block ×3, first 2 shown]
	v_and_or_b32 v155, v155, s38, v154
	v_and_b32_e32 v156, 0x100000, v156
	v_and_b32_e32 v29, 0x10000000, v29
	v_or3_b32 v29, v156, v29, v155
	v_lshrrev_b32_e32 v155, 8, v155
	v_and_b32_e32 v154, 31, v154
	v_and_b32_e32 v155, 31, v155
	v_cvt_f16_u16_e32 v154, v154
	v_cvt_f16_u16_e32 v155, v155
	v_pack_b32_f16 v154, v154, v155
	v_and_b32_sdwa v155, v29, v150 dst_sel:DWORD dst_unused:UNUSED_PAD src0_sel:WORD_1 src1_sel:DWORD
	v_cvt_f16_u16_sdwa v29, v29 dst_sel:DWORD dst_unused:UNUSED_PAD src0_sel:BYTE_3
	v_cvt_f16_u16_e32 v155, v155
	v_mul_u32_u24_sdwa v156, v28, s46 dst_sel:DWORD dst_unused:UNUSED_PAD src0_sel:WORD_0 src1_sel:DWORD
	v_mul_u32_u24_sdwa v28, v28, s46 dst_sel:DWORD dst_unused:UNUSED_PAD src0_sel:WORD_1 src1_sel:DWORD
	v_pack_b32_f16 v29, v155, v29
	v_pk_fma_f16 v154, v154, v156, v28
	v_pk_fma_f16 v28, v29, v156, v28
	v_pk_fma_f16 v159, v154, v161, v159
	v_pk_fma_f16 v160, v28, v161, v160
	v_lshl_add_u64 v[28:29], s[20:21], 0, v[72:73]
	v_mad_u64_u32 v[154:155], s[12:13], v130, 24, v[28:29]
	v_lshl_add_u64 v[156:157], v[154:155], 0, v[62:63]
	global_load_dword v156, v[156:157], off offset:8
	v_mul_u32_u24_sdwa v161, v30, s46 dst_sel:DWORD dst_unused:UNUSED_PAD src0_sel:WORD_0 src1_sel:DWORD
	global_load_dwordx2 v[154:155], v[154:155], off
	v_mad_u64_u32 v[28:29], s[12:13], v128, 24, v[28:29]
	v_mul_u32_u24_sdwa v30, v30, s46 dst_sel:DWORD dst_unused:UNUSED_PAD src0_sel:WORD_1 src1_sel:DWORD
	s_waitcnt vmcnt(1)
	v_ashrrev_i32_e32 v156, v145, v156
	v_and_b32_e32 v156, 0xf0f0f0f, v156
	s_waitcnt vmcnt(0)
	v_lshrrev_b32_e32 v157, v144, v155
	v_lshlrev_b32_e32 v157, 4, v157
	v_and_or_b32 v156, v157, 16, v156
	v_lshrrev_b32_e32 v157, v146, v155
	v_lshrrev_b32_e32 v162, v147, v155
	;; [unrolled: 1-line block ×3, first 2 shown]
	v_lshlrev_b32_e32 v157, 12, v157
	v_lshlrev_b32_e32 v162, 20, v162
	;; [unrolled: 1-line block ×3, first 2 shown]
	v_and_or_b32 v157, v157, s38, v156
	v_and_b32_e32 v162, 0x100000, v162
	v_and_b32_e32 v155, 0x10000000, v155
	v_or3_b32 v155, v162, v155, v157
	v_lshrrev_b32_e32 v157, 8, v157
	v_and_b32_e32 v156, 31, v156
	v_and_b32_e32 v157, 31, v157
	v_cvt_f16_u16_e32 v156, v156
	v_cvt_f16_u16_e32 v157, v157
	v_pack_b32_f16 v156, v156, v157
	v_and_b32_sdwa v157, v155, v150 dst_sel:DWORD dst_unused:UNUSED_PAD src0_sel:WORD_1 src1_sel:DWORD
	v_cvt_f16_u16_sdwa v155, v155 dst_sel:DWORD dst_unused:UNUSED_PAD src0_sel:BYTE_3
	v_cvt_f16_u16_e32 v157, v157
	v_mul_u32_u24_sdwa v162, v154, s46 dst_sel:DWORD dst_unused:UNUSED_PAD src0_sel:WORD_0 src1_sel:DWORD
	v_mul_u32_u24_sdwa v154, v154, s46 dst_sel:DWORD dst_unused:UNUSED_PAD src0_sel:WORD_1 src1_sel:DWORD
	v_pack_b32_f16 v155, v157, v155
	v_pk_fma_f16 v156, v156, v162, v154
	v_pk_fma_f16 v154, v155, v162, v154
	;; [unrolled: 1-line block ×4, first 2 shown]
	v_lshl_add_u64 v[154:155], v[28:29], 0, v[64:65]
	global_load_dword v154, v[154:155], off offset:8
	s_nop 0
	global_load_dwordx2 v[28:29], v[28:29], off
	s_waitcnt vmcnt(1)
	v_ashrrev_i32_e32 v154, v145, v154
	v_and_b32_e32 v154, 0xf0f0f0f, v154
	s_waitcnt vmcnt(0)
	v_lshrrev_b32_e32 v155, v144, v29
	v_lshlrev_b32_e32 v155, 4, v155
	v_and_or_b32 v154, v155, 16, v154
	v_lshrrev_b32_e32 v155, v146, v29
	v_lshrrev_b32_e32 v156, v147, v29
	;; [unrolled: 1-line block ×3, first 2 shown]
	v_lshlrev_b32_e32 v155, 12, v155
	v_lshlrev_b32_e32 v156, 20, v156
	;; [unrolled: 1-line block ×3, first 2 shown]
	v_and_or_b32 v155, v155, s38, v154
	v_and_b32_e32 v156, 0x100000, v156
	v_and_b32_e32 v29, 0x10000000, v29
	v_or3_b32 v29, v156, v29, v155
	v_lshrrev_b32_e32 v155, 8, v155
	v_and_b32_e32 v154, 31, v154
	v_and_b32_e32 v155, 31, v155
	v_cvt_f16_u16_e32 v154, v154
	v_cvt_f16_u16_e32 v155, v155
	v_pack_b32_f16 v154, v154, v155
	v_and_b32_sdwa v155, v29, v150 dst_sel:DWORD dst_unused:UNUSED_PAD src0_sel:WORD_1 src1_sel:DWORD
	v_cvt_f16_u16_sdwa v29, v29 dst_sel:DWORD dst_unused:UNUSED_PAD src0_sel:BYTE_3
	v_cvt_f16_u16_e32 v155, v155
	v_mul_u32_u24_sdwa v156, v28, s46 dst_sel:DWORD dst_unused:UNUSED_PAD src0_sel:WORD_0 src1_sel:DWORD
	v_mul_u32_u24_sdwa v28, v28, s46 dst_sel:DWORD dst_unused:UNUSED_PAD src0_sel:WORD_1 src1_sel:DWORD
	v_pack_b32_f16 v29, v155, v29
	v_pk_fma_f16 v154, v154, v156, v28
	v_pk_fma_f16 v28, v29, v156, v28
	v_pk_fma_f16 v159, v154, v161, v159
	v_pk_fma_f16 v160, v28, v161, v160
	v_lshl_add_u64 v[28:29], s[20:21], 0, v[74:75]
	v_mad_u64_u32 v[154:155], s[12:13], v130, 24, v[28:29]
	v_lshl_add_u64 v[156:157], v[154:155], 0, v[62:63]
	global_load_dword v156, v[156:157], off offset:8
	v_mad_u64_u32 v[28:29], s[12:13], v128, 24, v[28:29]
	global_load_dwordx2 v[154:155], v[154:155], off
	s_waitcnt vmcnt(1)
	v_ashrrev_i32_e32 v156, v145, v156
	v_and_b32_e32 v156, 0xf0f0f0f, v156
	s_waitcnt vmcnt(0)
	v_lshrrev_b32_e32 v157, v144, v155
	v_lshlrev_b32_e32 v157, 4, v157
	v_and_or_b32 v156, v157, 16, v156
	v_lshrrev_b32_e32 v157, v146, v155
	v_lshrrev_b32_e32 v161, v147, v155
	;; [unrolled: 1-line block ×3, first 2 shown]
	v_lshlrev_b32_e32 v157, 12, v157
	v_lshlrev_b32_e32 v161, 20, v161
	v_lshlrev_b32_e32 v155, 28, v155
	v_and_or_b32 v157, v157, s38, v156
	v_and_b32_e32 v161, 0x100000, v161
	v_and_b32_e32 v155, 0x10000000, v155
	v_or3_b32 v155, v161, v155, v157
	v_lshrrev_b32_e32 v157, 8, v157
	v_and_b32_e32 v156, 31, v156
	v_and_b32_e32 v157, 31, v157
	v_cvt_f16_u16_e32 v156, v156
	v_cvt_f16_u16_e32 v157, v157
	v_pack_b32_f16 v156, v156, v157
	v_and_b32_sdwa v157, v155, v150 dst_sel:DWORD dst_unused:UNUSED_PAD src0_sel:WORD_1 src1_sel:DWORD
	v_cvt_f16_u16_sdwa v155, v155 dst_sel:DWORD dst_unused:UNUSED_PAD src0_sel:BYTE_3
	v_cvt_f16_u16_e32 v157, v157
	v_mul_u32_u24_sdwa v161, v154, s46 dst_sel:DWORD dst_unused:UNUSED_PAD src0_sel:WORD_0 src1_sel:DWORD
	v_mul_u32_u24_sdwa v154, v154, s46 dst_sel:DWORD dst_unused:UNUSED_PAD src0_sel:WORD_1 src1_sel:DWORD
	v_pack_b32_f16 v155, v157, v155
	v_pk_fma_f16 v156, v156, v161, v154
	v_pk_fma_f16 v154, v155, v161, v154
	;; [unrolled: 1-line block ×4, first 2 shown]
	v_lshl_add_u64 v[154:155], v[28:29], 0, v[64:65]
	global_load_dword v154, v[154:155], off offset:8
	s_nop 0
	global_load_dwordx2 v[28:29], v[28:29], off
	s_waitcnt vmcnt(1)
	v_ashrrev_i32_e32 v154, v145, v154
	v_and_b32_e32 v154, 0xf0f0f0f, v154
	s_waitcnt vmcnt(0)
	v_lshrrev_b32_e32 v155, v144, v29
	v_lshlrev_b32_e32 v155, 4, v155
	v_and_or_b32 v154, v155, 16, v154
	v_lshrrev_b32_e32 v155, v146, v29
	v_lshrrev_b32_e32 v156, v147, v29
	;; [unrolled: 1-line block ×3, first 2 shown]
	v_lshlrev_b32_e32 v155, 12, v155
	v_lshlrev_b32_e32 v156, 20, v156
	;; [unrolled: 1-line block ×3, first 2 shown]
	v_and_or_b32 v155, v155, s38, v154
	v_and_b32_e32 v156, 0x100000, v156
	v_and_b32_e32 v29, 0x10000000, v29
	v_or3_b32 v29, v156, v29, v155
	v_lshrrev_b32_e32 v155, 8, v155
	v_and_b32_e32 v154, 31, v154
	v_and_b32_e32 v155, 31, v155
	v_cvt_f16_u16_e32 v154, v154
	v_cvt_f16_u16_e32 v155, v155
	v_pack_b32_f16 v154, v154, v155
	v_and_b32_sdwa v155, v29, v150 dst_sel:DWORD dst_unused:UNUSED_PAD src0_sel:WORD_1 src1_sel:DWORD
	v_cvt_f16_u16_sdwa v29, v29 dst_sel:DWORD dst_unused:UNUSED_PAD src0_sel:BYTE_3
	v_cvt_f16_u16_e32 v155, v155
	v_mul_u32_u24_sdwa v156, v28, s46 dst_sel:DWORD dst_unused:UNUSED_PAD src0_sel:WORD_0 src1_sel:DWORD
	v_mul_u32_u24_sdwa v28, v28, s46 dst_sel:DWORD dst_unused:UNUSED_PAD src0_sel:WORD_1 src1_sel:DWORD
	v_pack_b32_f16 v29, v155, v29
	v_pk_fma_f16 v154, v154, v156, v28
	v_pk_fma_f16 v28, v29, v156, v28
	;; [unrolled: 1-line block ×4, first 2 shown]
	v_lshl_add_u64 v[28:29], s[20:21], 0, v[76:77]
	v_mad_u64_u32 v[154:155], s[12:13], v130, 24, v[28:29]
	v_lshl_add_u64 v[156:157], v[154:155], 0, v[62:63]
	global_load_dword v156, v[156:157], off offset:8
	v_mul_u32_u24_sdwa v160, v31, s46 dst_sel:DWORD dst_unused:UNUSED_PAD src0_sel:WORD_0 src1_sel:DWORD
	global_load_dwordx2 v[154:155], v[154:155], off
	v_mad_u64_u32 v[28:29], s[12:13], v128, 24, v[28:29]
	s_waitcnt vmcnt(1)
	v_ashrrev_i32_e32 v156, v145, v156
	v_and_b32_e32 v156, 0xf0f0f0f, v156
	s_waitcnt vmcnt(0)
	v_lshrrev_b32_e32 v157, v144, v155
	v_lshlrev_b32_e32 v157, 4, v157
	v_and_or_b32 v156, v157, 16, v156
	v_lshrrev_b32_e32 v157, v146, v155
	v_lshrrev_b32_e32 v161, v147, v155
	v_lshrrev_b32_e32 v155, v148, v155
	v_lshlrev_b32_e32 v157, 12, v157
	v_lshlrev_b32_e32 v161, 20, v161
	;; [unrolled: 1-line block ×3, first 2 shown]
	v_and_or_b32 v157, v157, s38, v156
	v_and_b32_e32 v161, 0x100000, v161
	v_and_b32_e32 v155, 0x10000000, v155
	v_or3_b32 v155, v161, v155, v157
	v_lshrrev_b32_e32 v157, 8, v157
	v_and_b32_e32 v156, 31, v156
	v_and_b32_e32 v157, 31, v157
	v_cvt_f16_u16_e32 v156, v156
	v_cvt_f16_u16_e32 v157, v157
	v_pack_b32_f16 v156, v156, v157
	v_and_b32_sdwa v157, v155, v150 dst_sel:DWORD dst_unused:UNUSED_PAD src0_sel:WORD_1 src1_sel:DWORD
	v_cvt_f16_u16_sdwa v155, v155 dst_sel:DWORD dst_unused:UNUSED_PAD src0_sel:BYTE_3
	v_cvt_f16_u16_e32 v157, v157
	v_mul_u32_u24_sdwa v161, v154, s46 dst_sel:DWORD dst_unused:UNUSED_PAD src0_sel:WORD_0 src1_sel:DWORD
	v_mul_u32_u24_sdwa v154, v154, s46 dst_sel:DWORD dst_unused:UNUSED_PAD src0_sel:WORD_1 src1_sel:DWORD
	v_pack_b32_f16 v155, v157, v155
	v_pk_fma_f16 v156, v156, v161, v154
	v_pk_fma_f16 v154, v155, v161, v154
	;; [unrolled: 1-line block ×4, first 2 shown]
	v_lshl_add_u64 v[154:155], v[28:29], 0, v[64:65]
	global_load_dword v154, v[154:155], off offset:8
	s_nop 0
	global_load_dwordx2 v[28:29], v[28:29], off
	s_waitcnt vmcnt(1)
	v_ashrrev_i32_e32 v154, v145, v154
	v_and_b32_e32 v154, 0xf0f0f0f, v154
	s_waitcnt vmcnt(0)
	v_lshrrev_b32_e32 v155, v144, v29
	v_lshlrev_b32_e32 v155, 4, v155
	v_and_or_b32 v154, v155, 16, v154
	v_lshrrev_b32_e32 v155, v146, v29
	v_lshrrev_b32_e32 v157, v147, v29
	;; [unrolled: 1-line block ×3, first 2 shown]
	v_lshlrev_b32_e32 v155, 12, v155
	v_lshlrev_b32_e32 v157, 20, v157
	;; [unrolled: 1-line block ×3, first 2 shown]
	v_and_or_b32 v155, v155, s38, v154
	v_and_b32_e32 v157, 0x100000, v157
	v_and_b32_e32 v29, 0x10000000, v29
	v_or3_b32 v29, v157, v29, v155
	v_lshrrev_b32_e32 v155, 8, v155
	v_and_b32_e32 v154, 31, v154
	v_and_b32_e32 v155, 31, v155
	v_cvt_f16_u16_e32 v154, v154
	v_cvt_f16_u16_e32 v155, v155
	v_pack_b32_f16 v154, v154, v155
	v_and_b32_sdwa v155, v29, v150 dst_sel:DWORD dst_unused:UNUSED_PAD src0_sel:WORD_1 src1_sel:DWORD
	v_cvt_f16_u16_sdwa v29, v29 dst_sel:DWORD dst_unused:UNUSED_PAD src0_sel:BYTE_3
	v_cvt_f16_u16_e32 v155, v155
	v_mul_u32_u24_sdwa v157, v28, s46 dst_sel:DWORD dst_unused:UNUSED_PAD src0_sel:WORD_0 src1_sel:DWORD
	v_mul_u32_u24_sdwa v28, v28, s46 dst_sel:DWORD dst_unused:UNUSED_PAD src0_sel:WORD_1 src1_sel:DWORD
	v_pack_b32_f16 v29, v155, v29
	v_pk_fma_f16 v154, v154, v157, v28
	v_pk_fma_f16 v28, v29, v157, v28
	;; [unrolled: 1-line block ×4, first 2 shown]
	v_lshl_add_u64 v[28:29], s[20:21], 0, v[78:79]
	v_mul_u32_u24_sdwa v159, v31, s46 dst_sel:DWORD dst_unused:UNUSED_PAD src0_sel:WORD_1 src1_sel:DWORD
	v_mad_u64_u32 v[30:31], s[12:13], v130, 24, v[28:29]
	v_lshl_add_u64 v[154:155], v[30:31], 0, v[62:63]
	global_load_dword v154, v[154:155], off offset:8
	v_mad_u64_u32 v[28:29], s[12:13], v128, 24, v[28:29]
	global_load_dwordx2 v[30:31], v[30:31], off
	s_waitcnt vmcnt(1)
	v_ashrrev_i32_e32 v154, v145, v154
	v_and_b32_e32 v154, 0xf0f0f0f, v154
	s_waitcnt vmcnt(0)
	v_lshrrev_b32_e32 v155, v144, v31
	v_lshlrev_b32_e32 v155, 4, v155
	v_and_or_b32 v154, v155, 16, v154
	v_lshrrev_b32_e32 v155, v146, v31
	v_lshrrev_b32_e32 v160, v147, v31
	;; [unrolled: 1-line block ×3, first 2 shown]
	v_lshlrev_b32_e32 v155, 12, v155
	v_lshlrev_b32_e32 v160, 20, v160
	;; [unrolled: 1-line block ×3, first 2 shown]
	v_and_or_b32 v155, v155, s38, v154
	v_and_b32_e32 v160, 0x100000, v160
	v_and_b32_e32 v31, 0x10000000, v31
	v_or3_b32 v31, v160, v31, v155
	v_lshrrev_b32_e32 v155, 8, v155
	v_and_b32_e32 v154, 31, v154
	v_and_b32_e32 v155, 31, v155
	v_cvt_f16_u16_e32 v154, v154
	v_cvt_f16_u16_e32 v155, v155
	v_pack_b32_f16 v154, v154, v155
	v_and_b32_sdwa v155, v31, v150 dst_sel:DWORD dst_unused:UNUSED_PAD src0_sel:WORD_1 src1_sel:DWORD
	v_cvt_f16_u16_sdwa v31, v31 dst_sel:DWORD dst_unused:UNUSED_PAD src0_sel:BYTE_3
	v_cvt_f16_u16_e32 v155, v155
	v_mul_u32_u24_sdwa v160, v30, s46 dst_sel:DWORD dst_unused:UNUSED_PAD src0_sel:WORD_0 src1_sel:DWORD
	v_mul_u32_u24_sdwa v30, v30, s46 dst_sel:DWORD dst_unused:UNUSED_PAD src0_sel:WORD_1 src1_sel:DWORD
	v_pack_b32_f16 v31, v155, v31
	v_pk_fma_f16 v154, v154, v160, v30
	v_pk_fma_f16 v30, v31, v160, v30
	;; [unrolled: 1-line block ×4, first 2 shown]
	v_lshl_add_u64 v[30:31], v[28:29], 0, v[64:65]
	global_load_dword v30, v[30:31], off offset:8
	s_nop 0
	global_load_dwordx2 v[28:29], v[28:29], off
	s_waitcnt vmcnt(1)
	v_ashrrev_i32_e32 v30, v145, v30
	v_and_b32_e32 v30, 0xf0f0f0f, v30
	s_waitcnt vmcnt(0)
	v_lshrrev_b32_e32 v31, v144, v29
	v_lshlrev_b32_e32 v31, 4, v31
	v_and_or_b32 v30, v31, 16, v30
	v_lshrrev_b32_e32 v31, v146, v29
	v_lshrrev_b32_e32 v154, v147, v29
	;; [unrolled: 1-line block ×3, first 2 shown]
	v_lshlrev_b32_e32 v31, 12, v31
	v_lshlrev_b32_e32 v154, 20, v154
	;; [unrolled: 1-line block ×3, first 2 shown]
	v_and_or_b32 v31, v31, s38, v30
	v_and_b32_e32 v154, 0x100000, v154
	v_and_b32_e32 v29, 0x10000000, v29
	v_or3_b32 v29, v154, v29, v31
	v_lshrrev_b32_e32 v31, 8, v31
	v_and_b32_e32 v30, 31, v30
	v_and_b32_e32 v31, 31, v31
	v_cvt_f16_u16_e32 v30, v30
	v_cvt_f16_u16_e32 v31, v31
	v_pack_b32_f16 v30, v30, v31
	v_and_b32_sdwa v31, v29, v150 dst_sel:DWORD dst_unused:UNUSED_PAD src0_sel:WORD_1 src1_sel:DWORD
	v_cvt_f16_u16_sdwa v29, v29 dst_sel:DWORD dst_unused:UNUSED_PAD src0_sel:BYTE_3
	v_cvt_f16_u16_e32 v31, v31
	v_mul_u32_u24_sdwa v154, v28, s46 dst_sel:DWORD dst_unused:UNUSED_PAD src0_sel:WORD_0 src1_sel:DWORD
	v_mul_u32_u24_sdwa v28, v28, s46 dst_sel:DWORD dst_unused:UNUSED_PAD src0_sel:WORD_1 src1_sel:DWORD
	v_pack_b32_f16 v29, v31, v29
	v_pk_fma_f16 v30, v30, v154, v28
	v_pk_fma_f16 v28, v29, v154, v28
	;; [unrolled: 1-line block ×4, first 2 shown]
	v_lshl_add_u64 v[28:29], s[20:21], 0, v[80:81]
	v_mad_u64_u32 v[30:31], s[12:13], v130, 24, v[28:29]
	v_lshl_add_u64 v[154:155], v[30:31], 0, v[62:63]
	global_load_dword v154, v[154:155], off offset:8
	s_waitcnt lgkmcnt(2)
	v_mul_u32_u24_sdwa v159, v24, s46 dst_sel:DWORD dst_unused:UNUSED_PAD src0_sel:WORD_0 src1_sel:DWORD
	global_load_dwordx2 v[30:31], v[30:31], off
	v_mad_u64_u32 v[28:29], s[12:13], v128, 24, v[28:29]
	v_mul_u32_u24_sdwa v24, v24, s46 dst_sel:DWORD dst_unused:UNUSED_PAD src0_sel:WORD_1 src1_sel:DWORD
	s_waitcnt vmcnt(1)
	v_ashrrev_i32_e32 v154, v145, v154
	v_and_b32_e32 v154, 0xf0f0f0f, v154
	s_waitcnt vmcnt(0)
	v_lshrrev_b32_e32 v155, v144, v31
	v_lshlrev_b32_e32 v155, 4, v155
	v_and_or_b32 v154, v155, 16, v154
	v_lshrrev_b32_e32 v155, v146, v31
	v_lshrrev_b32_e32 v160, v147, v31
	;; [unrolled: 1-line block ×3, first 2 shown]
	v_lshlrev_b32_e32 v155, 12, v155
	v_lshlrev_b32_e32 v160, 20, v160
	;; [unrolled: 1-line block ×3, first 2 shown]
	v_and_or_b32 v155, v155, s38, v154
	v_and_b32_e32 v160, 0x100000, v160
	v_and_b32_e32 v31, 0x10000000, v31
	v_or3_b32 v31, v160, v31, v155
	v_lshrrev_b32_e32 v155, 8, v155
	v_and_b32_e32 v154, 31, v154
	v_and_b32_e32 v155, 31, v155
	v_cvt_f16_u16_e32 v154, v154
	v_cvt_f16_u16_e32 v155, v155
	v_pack_b32_f16 v154, v154, v155
	v_and_b32_sdwa v155, v31, v150 dst_sel:DWORD dst_unused:UNUSED_PAD src0_sel:WORD_1 src1_sel:DWORD
	v_cvt_f16_u16_sdwa v31, v31 dst_sel:DWORD dst_unused:UNUSED_PAD src0_sel:BYTE_3
	v_cvt_f16_u16_e32 v155, v155
	v_mul_u32_u24_sdwa v160, v30, s46 dst_sel:DWORD dst_unused:UNUSED_PAD src0_sel:WORD_0 src1_sel:DWORD
	v_mul_u32_u24_sdwa v30, v30, s46 dst_sel:DWORD dst_unused:UNUSED_PAD src0_sel:WORD_1 src1_sel:DWORD
	v_pack_b32_f16 v31, v155, v31
	v_pk_fma_f16 v154, v154, v160, v30
	v_pk_fma_f16 v30, v31, v160, v30
	v_pk_fma_f16 v153, v154, v159, v153
	v_pk_fma_f16 v156, v30, v159, v156
	v_lshl_add_u64 v[30:31], v[28:29], 0, v[64:65]
	global_load_dword v30, v[30:31], off offset:8
	s_nop 0
	global_load_dwordx2 v[28:29], v[28:29], off
	s_waitcnt vmcnt(1)
	v_ashrrev_i32_e32 v30, v145, v30
	v_and_b32_e32 v30, 0xf0f0f0f, v30
	s_waitcnt vmcnt(0)
	v_lshrrev_b32_e32 v31, v144, v29
	v_lshlrev_b32_e32 v31, 4, v31
	v_and_or_b32 v30, v31, 16, v30
	v_lshrrev_b32_e32 v31, v146, v29
	v_lshrrev_b32_e32 v154, v147, v29
	;; [unrolled: 1-line block ×3, first 2 shown]
	v_lshlrev_b32_e32 v31, 12, v31
	v_lshlrev_b32_e32 v154, 20, v154
	;; [unrolled: 1-line block ×3, first 2 shown]
	v_and_or_b32 v31, v31, s38, v30
	v_and_b32_e32 v154, 0x100000, v154
	v_and_b32_e32 v29, 0x10000000, v29
	v_or3_b32 v29, v154, v29, v31
	v_lshrrev_b32_e32 v31, 8, v31
	v_and_b32_e32 v30, 31, v30
	v_and_b32_e32 v31, 31, v31
	v_cvt_f16_u16_e32 v30, v30
	v_cvt_f16_u16_e32 v31, v31
	v_pack_b32_f16 v30, v30, v31
	v_and_b32_sdwa v31, v29, v150 dst_sel:DWORD dst_unused:UNUSED_PAD src0_sel:WORD_1 src1_sel:DWORD
	v_cvt_f16_u16_sdwa v29, v29 dst_sel:DWORD dst_unused:UNUSED_PAD src0_sel:BYTE_3
	v_cvt_f16_u16_e32 v31, v31
	v_mul_u32_u24_sdwa v154, v28, s46 dst_sel:DWORD dst_unused:UNUSED_PAD src0_sel:WORD_0 src1_sel:DWORD
	v_mul_u32_u24_sdwa v28, v28, s46 dst_sel:DWORD dst_unused:UNUSED_PAD src0_sel:WORD_1 src1_sel:DWORD
	v_pack_b32_f16 v29, v31, v29
	v_pk_fma_f16 v30, v30, v154, v28
	v_pk_fma_f16 v28, v29, v154, v28
	;; [unrolled: 1-line block ×4, first 2 shown]
	v_lshl_add_u64 v[28:29], s[20:21], 0, v[82:83]
	v_mad_u64_u32 v[30:31], s[12:13], v130, 24, v[28:29]
	v_lshl_add_u64 v[154:155], v[30:31], 0, v[62:63]
	global_load_dword v154, v[154:155], off offset:8
	v_mad_u64_u32 v[28:29], s[12:13], v128, 24, v[28:29]
	global_load_dwordx2 v[30:31], v[30:31], off
	s_waitcnt vmcnt(1)
	v_ashrrev_i32_e32 v154, v145, v154
	v_and_b32_e32 v154, 0xf0f0f0f, v154
	s_waitcnt vmcnt(0)
	v_lshrrev_b32_e32 v155, v144, v31
	v_lshlrev_b32_e32 v155, 4, v155
	v_and_or_b32 v154, v155, 16, v154
	v_lshrrev_b32_e32 v155, v146, v31
	v_lshrrev_b32_e32 v159, v147, v31
	;; [unrolled: 1-line block ×3, first 2 shown]
	v_lshlrev_b32_e32 v155, 12, v155
	v_lshlrev_b32_e32 v159, 20, v159
	;; [unrolled: 1-line block ×3, first 2 shown]
	v_and_or_b32 v155, v155, s38, v154
	v_and_b32_e32 v159, 0x100000, v159
	v_and_b32_e32 v31, 0x10000000, v31
	v_or3_b32 v31, v159, v31, v155
	v_lshrrev_b32_e32 v155, 8, v155
	v_and_b32_e32 v154, 31, v154
	v_and_b32_e32 v155, 31, v155
	v_cvt_f16_u16_e32 v154, v154
	v_cvt_f16_u16_e32 v155, v155
	v_pack_b32_f16 v154, v154, v155
	v_and_b32_sdwa v155, v31, v150 dst_sel:DWORD dst_unused:UNUSED_PAD src0_sel:WORD_1 src1_sel:DWORD
	v_cvt_f16_u16_sdwa v31, v31 dst_sel:DWORD dst_unused:UNUSED_PAD src0_sel:BYTE_3
	v_cvt_f16_u16_e32 v155, v155
	v_mul_u32_u24_sdwa v159, v30, s46 dst_sel:DWORD dst_unused:UNUSED_PAD src0_sel:WORD_0 src1_sel:DWORD
	v_mul_u32_u24_sdwa v30, v30, s46 dst_sel:DWORD dst_unused:UNUSED_PAD src0_sel:WORD_1 src1_sel:DWORD
	v_pack_b32_f16 v31, v155, v31
	v_pk_fma_f16 v154, v154, v159, v30
	v_pk_fma_f16 v30, v31, v159, v30
	;; [unrolled: 1-line block ×4, first 2 shown]
	v_lshl_add_u64 v[30:31], v[28:29], 0, v[64:65]
	global_load_dword v30, v[30:31], off offset:8
	s_nop 0
	global_load_dwordx2 v[28:29], v[28:29], off
	s_waitcnt vmcnt(1)
	v_ashrrev_i32_e32 v30, v145, v30
	v_and_b32_e32 v30, 0xf0f0f0f, v30
	s_waitcnt vmcnt(0)
	v_lshrrev_b32_e32 v31, v144, v29
	v_lshlrev_b32_e32 v31, 4, v31
	v_and_or_b32 v30, v31, 16, v30
	v_lshrrev_b32_e32 v31, v146, v29
	v_lshrrev_b32_e32 v154, v147, v29
	;; [unrolled: 1-line block ×3, first 2 shown]
	v_lshlrev_b32_e32 v31, 12, v31
	v_lshlrev_b32_e32 v154, 20, v154
	;; [unrolled: 1-line block ×3, first 2 shown]
	v_and_or_b32 v31, v31, s38, v30
	v_and_b32_e32 v154, 0x100000, v154
	v_and_b32_e32 v29, 0x10000000, v29
	v_or3_b32 v29, v154, v29, v31
	v_lshrrev_b32_e32 v31, 8, v31
	v_and_b32_e32 v30, 31, v30
	v_and_b32_e32 v31, 31, v31
	v_cvt_f16_u16_e32 v30, v30
	v_cvt_f16_u16_e32 v31, v31
	v_pack_b32_f16 v30, v30, v31
	v_and_b32_sdwa v31, v29, v150 dst_sel:DWORD dst_unused:UNUSED_PAD src0_sel:WORD_1 src1_sel:DWORD
	v_cvt_f16_u16_sdwa v29, v29 dst_sel:DWORD dst_unused:UNUSED_PAD src0_sel:BYTE_3
	v_cvt_f16_u16_e32 v31, v31
	v_mul_u32_u24_sdwa v154, v28, s46 dst_sel:DWORD dst_unused:UNUSED_PAD src0_sel:WORD_0 src1_sel:DWORD
	v_mul_u32_u24_sdwa v28, v28, s46 dst_sel:DWORD dst_unused:UNUSED_PAD src0_sel:WORD_1 src1_sel:DWORD
	v_pack_b32_f16 v29, v31, v29
	v_pk_fma_f16 v30, v30, v154, v28
	v_pk_fma_f16 v28, v29, v154, v28
	v_pk_fma_f16 v157, v30, v24, v157
	v_pk_fma_f16 v24, v28, v24, v158
	v_lshl_add_u64 v[28:29], s[20:21], 0, v[84:85]
	v_mad_u64_u32 v[30:31], s[12:13], v130, 24, v[28:29]
	v_lshl_add_u64 v[154:155], v[30:31], 0, v[62:63]
	global_load_dword v154, v[154:155], off offset:8
	v_mul_u32_u24_sdwa v158, v25, s46 dst_sel:DWORD dst_unused:UNUSED_PAD src0_sel:WORD_0 src1_sel:DWORD
	global_load_dwordx2 v[30:31], v[30:31], off
	v_mad_u64_u32 v[28:29], s[12:13], v128, 24, v[28:29]
	s_waitcnt vmcnt(1)
	v_ashrrev_i32_e32 v154, v145, v154
	v_and_b32_e32 v154, 0xf0f0f0f, v154
	s_waitcnt vmcnt(0)
	v_lshrrev_b32_e32 v155, v144, v31
	v_lshlrev_b32_e32 v155, 4, v155
	v_and_or_b32 v154, v155, 16, v154
	v_lshrrev_b32_e32 v155, v146, v31
	v_lshrrev_b32_e32 v159, v147, v31
	;; [unrolled: 1-line block ×3, first 2 shown]
	v_lshlrev_b32_e32 v155, 12, v155
	v_lshlrev_b32_e32 v159, 20, v159
	;; [unrolled: 1-line block ×3, first 2 shown]
	v_and_or_b32 v155, v155, s38, v154
	v_and_b32_e32 v159, 0x100000, v159
	v_and_b32_e32 v31, 0x10000000, v31
	v_or3_b32 v31, v159, v31, v155
	v_lshrrev_b32_e32 v155, 8, v155
	v_and_b32_e32 v154, 31, v154
	v_and_b32_e32 v155, 31, v155
	v_cvt_f16_u16_e32 v154, v154
	v_cvt_f16_u16_e32 v155, v155
	v_pack_b32_f16 v154, v154, v155
	v_and_b32_sdwa v155, v31, v150 dst_sel:DWORD dst_unused:UNUSED_PAD src0_sel:WORD_1 src1_sel:DWORD
	v_cvt_f16_u16_sdwa v31, v31 dst_sel:DWORD dst_unused:UNUSED_PAD src0_sel:BYTE_3
	v_cvt_f16_u16_e32 v155, v155
	v_mul_u32_u24_sdwa v159, v30, s46 dst_sel:DWORD dst_unused:UNUSED_PAD src0_sel:WORD_0 src1_sel:DWORD
	v_mul_u32_u24_sdwa v30, v30, s46 dst_sel:DWORD dst_unused:UNUSED_PAD src0_sel:WORD_1 src1_sel:DWORD
	v_pack_b32_f16 v31, v155, v31
	v_pk_fma_f16 v154, v154, v159, v30
	v_pk_fma_f16 v30, v31, v159, v30
	;; [unrolled: 1-line block ×4, first 2 shown]
	v_lshl_add_u64 v[30:31], v[28:29], 0, v[64:65]
	global_load_dword v30, v[30:31], off offset:8
	s_nop 0
	global_load_dwordx2 v[28:29], v[28:29], off
	s_waitcnt vmcnt(1)
	v_ashrrev_i32_e32 v30, v145, v30
	v_and_b32_e32 v30, 0xf0f0f0f, v30
	s_waitcnt vmcnt(0)
	v_lshrrev_b32_e32 v31, v144, v29
	v_lshlrev_b32_e32 v31, 4, v31
	v_and_or_b32 v30, v31, 16, v30
	v_lshrrev_b32_e32 v31, v146, v29
	v_lshrrev_b32_e32 v155, v147, v29
	;; [unrolled: 1-line block ×3, first 2 shown]
	v_lshlrev_b32_e32 v31, 12, v31
	v_lshlrev_b32_e32 v155, 20, v155
	;; [unrolled: 1-line block ×3, first 2 shown]
	v_and_or_b32 v31, v31, s38, v30
	v_and_b32_e32 v155, 0x100000, v155
	v_and_b32_e32 v29, 0x10000000, v29
	v_or3_b32 v29, v155, v29, v31
	v_lshrrev_b32_e32 v31, 8, v31
	v_and_b32_e32 v30, 31, v30
	v_and_b32_e32 v31, 31, v31
	v_cvt_f16_u16_e32 v30, v30
	v_cvt_f16_u16_e32 v31, v31
	v_pack_b32_f16 v30, v30, v31
	v_and_b32_sdwa v31, v29, v150 dst_sel:DWORD dst_unused:UNUSED_PAD src0_sel:WORD_1 src1_sel:DWORD
	v_cvt_f16_u16_sdwa v29, v29 dst_sel:DWORD dst_unused:UNUSED_PAD src0_sel:BYTE_3
	v_cvt_f16_u16_e32 v31, v31
	v_mul_u32_u24_sdwa v155, v28, s46 dst_sel:DWORD dst_unused:UNUSED_PAD src0_sel:WORD_0 src1_sel:DWORD
	v_mul_u32_u24_sdwa v28, v28, s46 dst_sel:DWORD dst_unused:UNUSED_PAD src0_sel:WORD_1 src1_sel:DWORD
	v_pack_b32_f16 v29, v31, v29
	v_pk_fma_f16 v30, v30, v155, v28
	v_pk_fma_f16 v28, v29, v155, v28
	;; [unrolled: 1-line block ×4, first 2 shown]
	v_mul_u32_u24_sdwa v157, v25, s46 dst_sel:DWORD dst_unused:UNUSED_PAD src0_sel:WORD_1 src1_sel:DWORD
	v_lshl_add_u64 v[24:25], s[20:21], 0, v[86:87]
	v_mad_u64_u32 v[28:29], s[12:13], v130, 24, v[24:25]
	v_lshl_add_u64 v[30:31], v[28:29], 0, v[62:63]
	global_load_dword v30, v[30:31], off offset:8
	v_mad_u64_u32 v[24:25], s[12:13], v128, 24, v[24:25]
	global_load_dwordx2 v[28:29], v[28:29], off
	s_waitcnt vmcnt(1)
	v_ashrrev_i32_e32 v30, v145, v30
	v_and_b32_e32 v30, 0xf0f0f0f, v30
	s_waitcnt vmcnt(0)
	v_lshrrev_b32_e32 v31, v144, v29
	v_lshlrev_b32_e32 v31, 4, v31
	v_and_or_b32 v30, v31, 16, v30
	v_lshrrev_b32_e32 v31, v146, v29
	v_lshrrev_b32_e32 v158, v147, v29
	;; [unrolled: 1-line block ×3, first 2 shown]
	v_lshlrev_b32_e32 v31, 12, v31
	v_lshlrev_b32_e32 v158, 20, v158
	;; [unrolled: 1-line block ×3, first 2 shown]
	v_and_or_b32 v31, v31, s38, v30
	v_and_b32_e32 v158, 0x100000, v158
	v_and_b32_e32 v29, 0x10000000, v29
	v_or3_b32 v29, v158, v29, v31
	v_lshrrev_b32_e32 v31, 8, v31
	v_and_b32_e32 v30, 31, v30
	v_and_b32_e32 v31, 31, v31
	v_cvt_f16_u16_e32 v30, v30
	v_cvt_f16_u16_e32 v31, v31
	v_pack_b32_f16 v30, v30, v31
	v_and_b32_sdwa v31, v29, v150 dst_sel:DWORD dst_unused:UNUSED_PAD src0_sel:WORD_1 src1_sel:DWORD
	v_cvt_f16_u16_sdwa v29, v29 dst_sel:DWORD dst_unused:UNUSED_PAD src0_sel:BYTE_3
	v_cvt_f16_u16_e32 v31, v31
	v_mul_u32_u24_sdwa v158, v28, s46 dst_sel:DWORD dst_unused:UNUSED_PAD src0_sel:WORD_0 src1_sel:DWORD
	v_mul_u32_u24_sdwa v28, v28, s46 dst_sel:DWORD dst_unused:UNUSED_PAD src0_sel:WORD_1 src1_sel:DWORD
	v_pack_b32_f16 v29, v31, v29
	v_pk_fma_f16 v30, v30, v158, v28
	v_pk_fma_f16 v28, v29, v158, v28
	;; [unrolled: 1-line block ×4, first 2 shown]
	v_lshl_add_u64 v[28:29], v[24:25], 0, v[64:65]
	global_load_dword v28, v[28:29], off offset:8
	s_nop 0
	global_load_dwordx2 v[24:25], v[24:25], off
	s_waitcnt vmcnt(1)
	v_ashrrev_i32_e32 v28, v145, v28
	v_and_b32_e32 v28, 0xf0f0f0f, v28
	s_waitcnt vmcnt(0)
	v_lshrrev_b32_e32 v29, v144, v25
	v_lshlrev_b32_e32 v29, 4, v29
	v_and_or_b32 v28, v29, 16, v28
	v_lshrrev_b32_e32 v29, v146, v25
	v_lshrrev_b32_e32 v30, v147, v25
	;; [unrolled: 1-line block ×3, first 2 shown]
	v_lshlrev_b32_e32 v29, 12, v29
	v_lshlrev_b32_e32 v30, 20, v30
	;; [unrolled: 1-line block ×3, first 2 shown]
	v_and_or_b32 v29, v29, s38, v28
	v_and_b32_e32 v30, 0x100000, v30
	v_and_b32_e32 v25, 0x10000000, v25
	v_or3_b32 v25, v30, v25, v29
	v_lshrrev_b32_e32 v29, 8, v29
	v_and_b32_e32 v28, 31, v28
	v_and_b32_e32 v29, 31, v29
	v_cvt_f16_u16_e32 v28, v28
	v_cvt_f16_u16_e32 v29, v29
	v_pack_b32_f16 v28, v28, v29
	v_and_b32_sdwa v29, v25, v150 dst_sel:DWORD dst_unused:UNUSED_PAD src0_sel:WORD_1 src1_sel:DWORD
	v_cvt_f16_u16_sdwa v25, v25 dst_sel:DWORD dst_unused:UNUSED_PAD src0_sel:BYTE_3
	v_cvt_f16_u16_e32 v29, v29
	v_mul_u32_u24_sdwa v30, v24, s46 dst_sel:DWORD dst_unused:UNUSED_PAD src0_sel:WORD_0 src1_sel:DWORD
	v_mul_u32_u24_sdwa v24, v24, s46 dst_sel:DWORD dst_unused:UNUSED_PAD src0_sel:WORD_1 src1_sel:DWORD
	v_pack_b32_f16 v25, v29, v25
	v_pk_fma_f16 v28, v28, v30, v24
	v_pk_fma_f16 v24, v25, v30, v24
	;; [unrolled: 1-line block ×4, first 2 shown]
	v_lshl_add_u64 v[24:25], s[20:21], 0, v[88:89]
	v_mad_u64_u32 v[28:29], s[12:13], v130, 24, v[24:25]
	v_lshl_add_u64 v[30:31], v[28:29], 0, v[62:63]
	global_load_dword v30, v[30:31], off offset:8
	v_mul_u32_u24_sdwa v157, v26, s46 dst_sel:DWORD dst_unused:UNUSED_PAD src0_sel:WORD_0 src1_sel:DWORD
	global_load_dwordx2 v[28:29], v[28:29], off
	v_mad_u64_u32 v[24:25], s[12:13], v128, 24, v[24:25]
	v_mul_u32_u24_sdwa v26, v26, s46 dst_sel:DWORD dst_unused:UNUSED_PAD src0_sel:WORD_1 src1_sel:DWORD
	s_waitcnt vmcnt(1)
	v_ashrrev_i32_e32 v30, v145, v30
	v_and_b32_e32 v30, 0xf0f0f0f, v30
	s_waitcnt vmcnt(0)
	v_lshrrev_b32_e32 v31, v144, v29
	v_lshlrev_b32_e32 v31, 4, v31
	v_and_or_b32 v30, v31, 16, v30
	v_lshrrev_b32_e32 v31, v146, v29
	v_lshrrev_b32_e32 v158, v147, v29
	;; [unrolled: 1-line block ×3, first 2 shown]
	v_lshlrev_b32_e32 v31, 12, v31
	v_lshlrev_b32_e32 v158, 20, v158
	;; [unrolled: 1-line block ×3, first 2 shown]
	v_and_or_b32 v31, v31, s38, v30
	v_and_b32_e32 v158, 0x100000, v158
	v_and_b32_e32 v29, 0x10000000, v29
	v_or3_b32 v29, v158, v29, v31
	v_lshrrev_b32_e32 v31, 8, v31
	v_and_b32_e32 v30, 31, v30
	v_and_b32_e32 v31, 31, v31
	v_cvt_f16_u16_e32 v30, v30
	v_cvt_f16_u16_e32 v31, v31
	v_pack_b32_f16 v30, v30, v31
	v_and_b32_sdwa v31, v29, v150 dst_sel:DWORD dst_unused:UNUSED_PAD src0_sel:WORD_1 src1_sel:DWORD
	v_cvt_f16_u16_sdwa v29, v29 dst_sel:DWORD dst_unused:UNUSED_PAD src0_sel:BYTE_3
	v_cvt_f16_u16_e32 v31, v31
	v_mul_u32_u24_sdwa v158, v28, s46 dst_sel:DWORD dst_unused:UNUSED_PAD src0_sel:WORD_0 src1_sel:DWORD
	v_mul_u32_u24_sdwa v28, v28, s46 dst_sel:DWORD dst_unused:UNUSED_PAD src0_sel:WORD_1 src1_sel:DWORD
	v_pack_b32_f16 v29, v31, v29
	v_pk_fma_f16 v30, v30, v158, v28
	v_pk_fma_f16 v28, v29, v158, v28
	;; [unrolled: 1-line block ×4, first 2 shown]
	v_lshl_add_u64 v[28:29], v[24:25], 0, v[64:65]
	global_load_dword v28, v[28:29], off offset:8
	s_nop 0
	global_load_dwordx2 v[24:25], v[24:25], off
	s_waitcnt vmcnt(1)
	v_ashrrev_i32_e32 v28, v145, v28
	v_and_b32_e32 v28, 0xf0f0f0f, v28
	s_waitcnt vmcnt(0)
	v_lshrrev_b32_e32 v29, v144, v25
	v_lshlrev_b32_e32 v29, 4, v29
	v_and_or_b32 v28, v29, 16, v28
	v_lshrrev_b32_e32 v29, v146, v25
	v_lshrrev_b32_e32 v30, v147, v25
	;; [unrolled: 1-line block ×3, first 2 shown]
	v_lshlrev_b32_e32 v29, 12, v29
	v_lshlrev_b32_e32 v30, 20, v30
	;; [unrolled: 1-line block ×3, first 2 shown]
	v_and_or_b32 v29, v29, s38, v28
	v_and_b32_e32 v30, 0x100000, v30
	v_and_b32_e32 v25, 0x10000000, v25
	v_or3_b32 v25, v30, v25, v29
	v_lshrrev_b32_e32 v29, 8, v29
	v_and_b32_e32 v28, 31, v28
	v_and_b32_e32 v29, 31, v29
	v_cvt_f16_u16_e32 v28, v28
	v_cvt_f16_u16_e32 v29, v29
	v_pack_b32_f16 v28, v28, v29
	v_and_b32_sdwa v29, v25, v150 dst_sel:DWORD dst_unused:UNUSED_PAD src0_sel:WORD_1 src1_sel:DWORD
	v_cvt_f16_u16_sdwa v25, v25 dst_sel:DWORD dst_unused:UNUSED_PAD src0_sel:BYTE_3
	v_cvt_f16_u16_e32 v29, v29
	v_mul_u32_u24_sdwa v30, v24, s46 dst_sel:DWORD dst_unused:UNUSED_PAD src0_sel:WORD_0 src1_sel:DWORD
	v_mul_u32_u24_sdwa v24, v24, s46 dst_sel:DWORD dst_unused:UNUSED_PAD src0_sel:WORD_1 src1_sel:DWORD
	v_pack_b32_f16 v25, v29, v25
	v_pk_fma_f16 v28, v28, v30, v24
	v_pk_fma_f16 v24, v25, v30, v24
	;; [unrolled: 1-line block ×4, first 2 shown]
	v_lshl_add_u64 v[24:25], s[20:21], 0, v[90:91]
	v_mad_u64_u32 v[28:29], s[12:13], v130, 24, v[24:25]
	v_lshl_add_u64 v[30:31], v[28:29], 0, v[62:63]
	global_load_dword v30, v[30:31], off offset:8
	v_mad_u64_u32 v[24:25], s[12:13], v128, 24, v[24:25]
	global_load_dwordx2 v[28:29], v[28:29], off
	s_waitcnt vmcnt(1)
	v_ashrrev_i32_e32 v30, v145, v30
	v_and_b32_e32 v30, 0xf0f0f0f, v30
	s_waitcnt vmcnt(0)
	v_lshrrev_b32_e32 v31, v144, v29
	v_lshlrev_b32_e32 v31, 4, v31
	v_and_or_b32 v30, v31, 16, v30
	v_lshrrev_b32_e32 v31, v146, v29
	v_lshrrev_b32_e32 v157, v147, v29
	v_lshrrev_b32_e32 v29, v148, v29
	v_lshlrev_b32_e32 v31, 12, v31
	v_lshlrev_b32_e32 v157, 20, v157
	;; [unrolled: 1-line block ×3, first 2 shown]
	v_and_or_b32 v31, v31, s38, v30
	v_and_b32_e32 v157, 0x100000, v157
	v_and_b32_e32 v29, 0x10000000, v29
	v_or3_b32 v29, v157, v29, v31
	v_lshrrev_b32_e32 v31, 8, v31
	v_and_b32_e32 v30, 31, v30
	v_and_b32_e32 v31, 31, v31
	v_cvt_f16_u16_e32 v30, v30
	v_cvt_f16_u16_e32 v31, v31
	v_pack_b32_f16 v30, v30, v31
	v_and_b32_sdwa v31, v29, v150 dst_sel:DWORD dst_unused:UNUSED_PAD src0_sel:WORD_1 src1_sel:DWORD
	v_cvt_f16_u16_sdwa v29, v29 dst_sel:DWORD dst_unused:UNUSED_PAD src0_sel:BYTE_3
	v_cvt_f16_u16_e32 v31, v31
	v_mul_u32_u24_sdwa v157, v28, s46 dst_sel:DWORD dst_unused:UNUSED_PAD src0_sel:WORD_0 src1_sel:DWORD
	v_mul_u32_u24_sdwa v28, v28, s46 dst_sel:DWORD dst_unused:UNUSED_PAD src0_sel:WORD_1 src1_sel:DWORD
	v_pack_b32_f16 v29, v31, v29
	v_pk_fma_f16 v30, v30, v157, v28
	v_pk_fma_f16 v28, v29, v157, v28
	v_pk_fma_f16 v153, v30, v26, v153
	v_pk_fma_f16 v154, v28, v26, v154
	v_lshl_add_u64 v[28:29], v[24:25], 0, v[64:65]
	global_load_dword v28, v[28:29], off offset:8
	s_nop 0
	global_load_dwordx2 v[24:25], v[24:25], off
	s_waitcnt vmcnt(1)
	v_ashrrev_i32_e32 v28, v145, v28
	v_and_b32_e32 v28, 0xf0f0f0f, v28
	s_waitcnt vmcnt(0)
	v_lshrrev_b32_e32 v29, v144, v25
	v_lshlrev_b32_e32 v29, 4, v29
	v_and_or_b32 v28, v29, 16, v28
	v_lshrrev_b32_e32 v29, v146, v25
	v_lshrrev_b32_e32 v30, v147, v25
	;; [unrolled: 1-line block ×3, first 2 shown]
	v_lshlrev_b32_e32 v29, 12, v29
	v_lshlrev_b32_e32 v30, 20, v30
	;; [unrolled: 1-line block ×3, first 2 shown]
	v_and_or_b32 v29, v29, s38, v28
	v_and_b32_e32 v30, 0x100000, v30
	v_and_b32_e32 v25, 0x10000000, v25
	v_or3_b32 v25, v30, v25, v29
	v_lshrrev_b32_e32 v29, 8, v29
	v_and_b32_e32 v28, 31, v28
	v_and_b32_e32 v29, 31, v29
	v_cvt_f16_u16_e32 v28, v28
	v_cvt_f16_u16_e32 v29, v29
	v_pack_b32_f16 v28, v28, v29
	v_and_b32_sdwa v29, v25, v150 dst_sel:DWORD dst_unused:UNUSED_PAD src0_sel:WORD_1 src1_sel:DWORD
	v_cvt_f16_u16_sdwa v25, v25 dst_sel:DWORD dst_unused:UNUSED_PAD src0_sel:BYTE_3
	v_cvt_f16_u16_e32 v29, v29
	v_mul_u32_u24_sdwa v30, v24, s46 dst_sel:DWORD dst_unused:UNUSED_PAD src0_sel:WORD_0 src1_sel:DWORD
	v_mul_u32_u24_sdwa v24, v24, s46 dst_sel:DWORD dst_unused:UNUSED_PAD src0_sel:WORD_1 src1_sel:DWORD
	v_pack_b32_f16 v25, v29, v25
	v_pk_fma_f16 v28, v28, v30, v24
	v_pk_fma_f16 v24, v25, v30, v24
	;; [unrolled: 1-line block ×4, first 2 shown]
	v_lshl_add_u64 v[24:25], s[20:21], 0, v[92:93]
	v_mad_u64_u32 v[28:29], s[12:13], v130, 24, v[24:25]
	v_lshl_add_u64 v[30:31], v[28:29], 0, v[62:63]
	global_load_dword v30, v[30:31], off offset:8
	v_mul_u32_u24_sdwa v156, v27, s46 dst_sel:DWORD dst_unused:UNUSED_PAD src0_sel:WORD_0 src1_sel:DWORD
	global_load_dwordx2 v[28:29], v[28:29], off
	v_mad_u64_u32 v[24:25], s[12:13], v128, 24, v[24:25]
	s_waitcnt vmcnt(1)
	v_ashrrev_i32_e32 v30, v145, v30
	v_and_b32_e32 v30, 0xf0f0f0f, v30
	s_waitcnt vmcnt(0)
	v_lshrrev_b32_e32 v31, v144, v29
	v_lshlrev_b32_e32 v31, 4, v31
	v_and_or_b32 v30, v31, 16, v30
	v_lshrrev_b32_e32 v31, v146, v29
	v_lshrrev_b32_e32 v157, v147, v29
	;; [unrolled: 1-line block ×3, first 2 shown]
	v_lshlrev_b32_e32 v31, 12, v31
	v_lshlrev_b32_e32 v157, 20, v157
	;; [unrolled: 1-line block ×3, first 2 shown]
	v_and_or_b32 v31, v31, s38, v30
	v_and_b32_e32 v157, 0x100000, v157
	v_and_b32_e32 v29, 0x10000000, v29
	v_or3_b32 v29, v157, v29, v31
	v_lshrrev_b32_e32 v31, 8, v31
	v_and_b32_e32 v30, 31, v30
	v_and_b32_e32 v31, 31, v31
	v_cvt_f16_u16_e32 v30, v30
	v_cvt_f16_u16_e32 v31, v31
	v_pack_b32_f16 v30, v30, v31
	v_and_b32_sdwa v31, v29, v150 dst_sel:DWORD dst_unused:UNUSED_PAD src0_sel:WORD_1 src1_sel:DWORD
	v_cvt_f16_u16_sdwa v29, v29 dst_sel:DWORD dst_unused:UNUSED_PAD src0_sel:BYTE_3
	v_cvt_f16_u16_e32 v31, v31
	v_mul_u32_u24_sdwa v157, v28, s46 dst_sel:DWORD dst_unused:UNUSED_PAD src0_sel:WORD_0 src1_sel:DWORD
	v_mul_u32_u24_sdwa v28, v28, s46 dst_sel:DWORD dst_unused:UNUSED_PAD src0_sel:WORD_1 src1_sel:DWORD
	v_pack_b32_f16 v29, v31, v29
	v_pk_fma_f16 v30, v30, v157, v28
	v_pk_fma_f16 v28, v29, v157, v28
	v_pk_fma_f16 v30, v30, v156, v153
	v_pk_fma_f16 v31, v28, v156, v154
	v_lshl_add_u64 v[28:29], v[24:25], 0, v[64:65]
	global_load_dword v28, v[28:29], off offset:8
	s_nop 0
	global_load_dwordx2 v[24:25], v[24:25], off
	s_waitcnt vmcnt(1)
	v_ashrrev_i32_e32 v28, v145, v28
	v_and_b32_e32 v28, 0xf0f0f0f, v28
	s_waitcnt vmcnt(0)
	v_lshrrev_b32_e32 v29, v144, v25
	v_lshlrev_b32_e32 v29, 4, v29
	v_and_or_b32 v28, v29, 16, v28
	v_lshrrev_b32_e32 v29, v146, v25
	v_lshrrev_b32_e32 v153, v147, v25
	;; [unrolled: 1-line block ×3, first 2 shown]
	v_lshlrev_b32_e32 v29, 12, v29
	v_lshlrev_b32_e32 v153, 20, v153
	;; [unrolled: 1-line block ×3, first 2 shown]
	v_and_or_b32 v29, v29, s38, v28
	v_and_b32_e32 v153, 0x100000, v153
	v_and_b32_e32 v25, 0x10000000, v25
	v_or3_b32 v25, v153, v25, v29
	v_lshrrev_b32_e32 v29, 8, v29
	v_and_b32_e32 v28, 31, v28
	v_and_b32_e32 v29, 31, v29
	v_cvt_f16_u16_e32 v28, v28
	v_cvt_f16_u16_e32 v29, v29
	v_pack_b32_f16 v28, v28, v29
	v_and_b32_sdwa v29, v25, v150 dst_sel:DWORD dst_unused:UNUSED_PAD src0_sel:WORD_1 src1_sel:DWORD
	v_cvt_f16_u16_sdwa v25, v25 dst_sel:DWORD dst_unused:UNUSED_PAD src0_sel:BYTE_3
	v_cvt_f16_u16_e32 v29, v29
	v_mul_u32_u24_sdwa v153, v24, s46 dst_sel:DWORD dst_unused:UNUSED_PAD src0_sel:WORD_0 src1_sel:DWORD
	v_mul_u32_u24_sdwa v24, v24, s46 dst_sel:DWORD dst_unused:UNUSED_PAD src0_sel:WORD_1 src1_sel:DWORD
	v_pack_b32_f16 v25, v29, v25
	v_pk_fma_f16 v28, v28, v153, v24
	v_pk_fma_f16 v24, v25, v153, v24
	;; [unrolled: 1-line block ×4, first 2 shown]
	v_lshl_add_u64 v[24:25], s[20:21], 0, v[94:95]
	v_mul_u32_u24_sdwa v155, v27, s46 dst_sel:DWORD dst_unused:UNUSED_PAD src0_sel:WORD_1 src1_sel:DWORD
	v_mad_u64_u32 v[26:27], s[12:13], v130, 24, v[24:25]
	v_lshl_add_u64 v[28:29], v[26:27], 0, v[62:63]
	global_load_dword v28, v[28:29], off offset:8
	v_mad_u64_u32 v[24:25], s[12:13], v128, 24, v[24:25]
	global_load_dwordx2 v[26:27], v[26:27], off
	s_waitcnt vmcnt(1)
	v_ashrrev_i32_e32 v28, v145, v28
	v_and_b32_e32 v28, 0xf0f0f0f, v28
	s_waitcnt vmcnt(0)
	v_lshrrev_b32_e32 v29, v144, v27
	v_lshlrev_b32_e32 v29, 4, v29
	v_and_or_b32 v28, v29, 16, v28
	v_lshrrev_b32_e32 v29, v146, v27
	v_lshrrev_b32_e32 v156, v147, v27
	;; [unrolled: 1-line block ×3, first 2 shown]
	v_lshlrev_b32_e32 v29, 12, v29
	v_lshlrev_b32_e32 v156, 20, v156
	;; [unrolled: 1-line block ×3, first 2 shown]
	v_and_or_b32 v29, v29, s38, v28
	v_and_b32_e32 v156, 0x100000, v156
	v_and_b32_e32 v27, 0x10000000, v27
	v_or3_b32 v27, v156, v27, v29
	v_lshrrev_b32_e32 v29, 8, v29
	v_and_b32_e32 v28, 31, v28
	v_and_b32_e32 v29, 31, v29
	v_cvt_f16_u16_e32 v28, v28
	v_cvt_f16_u16_e32 v29, v29
	v_pack_b32_f16 v28, v28, v29
	v_and_b32_sdwa v29, v27, v150 dst_sel:DWORD dst_unused:UNUSED_PAD src0_sel:WORD_1 src1_sel:DWORD
	v_cvt_f16_u16_sdwa v27, v27 dst_sel:DWORD dst_unused:UNUSED_PAD src0_sel:BYTE_3
	v_cvt_f16_u16_e32 v29, v29
	v_mul_u32_u24_sdwa v156, v26, s46 dst_sel:DWORD dst_unused:UNUSED_PAD src0_sel:WORD_0 src1_sel:DWORD
	v_mul_u32_u24_sdwa v26, v26, s46 dst_sel:DWORD dst_unused:UNUSED_PAD src0_sel:WORD_1 src1_sel:DWORD
	v_pack_b32_f16 v27, v29, v27
	v_pk_fma_f16 v28, v28, v156, v26
	v_pk_fma_f16 v26, v27, v156, v26
	;; [unrolled: 1-line block ×4, first 2 shown]
	v_lshl_add_u64 v[26:27], v[24:25], 0, v[64:65]
	global_load_dword v26, v[26:27], off offset:8
	s_nop 0
	global_load_dwordx2 v[24:25], v[24:25], off
	s_waitcnt vmcnt(1)
	v_ashrrev_i32_e32 v26, v145, v26
	v_and_b32_e32 v26, 0xf0f0f0f, v26
	s_waitcnt vmcnt(0)
	v_lshrrev_b32_e32 v27, v144, v25
	v_lshlrev_b32_e32 v27, 4, v27
	v_and_or_b32 v26, v27, 16, v26
	v_lshrrev_b32_e32 v27, v146, v25
	v_lshrrev_b32_e32 v28, v147, v25
	;; [unrolled: 1-line block ×3, first 2 shown]
	v_lshlrev_b32_e32 v27, 12, v27
	v_lshlrev_b32_e32 v28, 20, v28
	;; [unrolled: 1-line block ×3, first 2 shown]
	v_and_or_b32 v27, v27, s38, v26
	v_and_b32_e32 v28, 0x100000, v28
	v_and_b32_e32 v25, 0x10000000, v25
	v_or3_b32 v25, v28, v25, v27
	v_lshrrev_b32_e32 v27, 8, v27
	v_and_b32_e32 v26, 31, v26
	v_and_b32_e32 v27, 31, v27
	v_cvt_f16_u16_e32 v26, v26
	v_cvt_f16_u16_e32 v27, v27
	v_pack_b32_f16 v26, v26, v27
	v_and_b32_sdwa v27, v25, v150 dst_sel:DWORD dst_unused:UNUSED_PAD src0_sel:WORD_1 src1_sel:DWORD
	v_cvt_f16_u16_sdwa v25, v25 dst_sel:DWORD dst_unused:UNUSED_PAD src0_sel:BYTE_3
	v_cvt_f16_u16_e32 v27, v27
	v_mul_u32_u24_sdwa v28, v24, s46 dst_sel:DWORD dst_unused:UNUSED_PAD src0_sel:WORD_0 src1_sel:DWORD
	v_mul_u32_u24_sdwa v24, v24, s46 dst_sel:DWORD dst_unused:UNUSED_PAD src0_sel:WORD_1 src1_sel:DWORD
	v_pack_b32_f16 v25, v27, v25
	v_pk_fma_f16 v26, v26, v28, v24
	v_pk_fma_f16 v24, v25, v28, v24
	;; [unrolled: 1-line block ×4, first 2 shown]
	v_lshl_add_u64 v[24:25], s[20:21], 0, v[96:97]
	v_mad_u64_u32 v[26:27], s[12:13], v130, 24, v[24:25]
	v_lshl_add_u64 v[28:29], v[26:27], 0, v[62:63]
	global_load_dword v28, v[28:29], off offset:8
	s_waitcnt lgkmcnt(1)
	v_mul_u32_u24_sdwa v155, v20, s46 dst_sel:DWORD dst_unused:UNUSED_PAD src0_sel:WORD_0 src1_sel:DWORD
	global_load_dwordx2 v[26:27], v[26:27], off
	v_mad_u64_u32 v[24:25], s[12:13], v128, 24, v[24:25]
	v_mul_u32_u24_sdwa v20, v20, s46 dst_sel:DWORD dst_unused:UNUSED_PAD src0_sel:WORD_1 src1_sel:DWORD
	s_waitcnt vmcnt(1)
	v_ashrrev_i32_e32 v28, v145, v28
	v_and_b32_e32 v28, 0xf0f0f0f, v28
	s_waitcnt vmcnt(0)
	v_lshrrev_b32_e32 v29, v144, v27
	v_lshlrev_b32_e32 v29, 4, v29
	v_and_or_b32 v28, v29, 16, v28
	v_lshrrev_b32_e32 v29, v146, v27
	v_lshrrev_b32_e32 v156, v147, v27
	;; [unrolled: 1-line block ×3, first 2 shown]
	v_lshlrev_b32_e32 v29, 12, v29
	v_lshlrev_b32_e32 v156, 20, v156
	v_lshlrev_b32_e32 v27, 28, v27
	v_and_or_b32 v29, v29, s38, v28
	v_and_b32_e32 v156, 0x100000, v156
	v_and_b32_e32 v27, 0x10000000, v27
	v_or3_b32 v27, v156, v27, v29
	v_lshrrev_b32_e32 v29, 8, v29
	v_and_b32_e32 v28, 31, v28
	v_and_b32_e32 v29, 31, v29
	v_cvt_f16_u16_e32 v28, v28
	v_cvt_f16_u16_e32 v29, v29
	v_pack_b32_f16 v28, v28, v29
	v_and_b32_sdwa v29, v27, v150 dst_sel:DWORD dst_unused:UNUSED_PAD src0_sel:WORD_1 src1_sel:DWORD
	v_cvt_f16_u16_sdwa v27, v27 dst_sel:DWORD dst_unused:UNUSED_PAD src0_sel:BYTE_3
	v_cvt_f16_u16_e32 v29, v29
	v_mul_u32_u24_sdwa v156, v26, s46 dst_sel:DWORD dst_unused:UNUSED_PAD src0_sel:WORD_0 src1_sel:DWORD
	v_mul_u32_u24_sdwa v26, v26, s46 dst_sel:DWORD dst_unused:UNUSED_PAD src0_sel:WORD_1 src1_sel:DWORD
	v_pack_b32_f16 v27, v29, v27
	v_pk_fma_f16 v28, v28, v156, v26
	v_pk_fma_f16 v26, v27, v156, v26
	v_pk_fma_f16 v30, v28, v155, v30
	v_pk_fma_f16 v31, v26, v155, v31
	v_lshl_add_u64 v[26:27], v[24:25], 0, v[64:65]
	global_load_dword v26, v[26:27], off offset:8
	s_nop 0
	global_load_dwordx2 v[24:25], v[24:25], off
	s_waitcnt vmcnt(1)
	v_ashrrev_i32_e32 v26, v145, v26
	v_and_b32_e32 v26, 0xf0f0f0f, v26
	s_waitcnt vmcnt(0)
	v_lshrrev_b32_e32 v27, v144, v25
	v_lshlrev_b32_e32 v27, 4, v27
	v_and_or_b32 v26, v27, 16, v26
	v_lshrrev_b32_e32 v27, v146, v25
	v_lshrrev_b32_e32 v28, v147, v25
	;; [unrolled: 1-line block ×3, first 2 shown]
	v_lshlrev_b32_e32 v27, 12, v27
	v_lshlrev_b32_e32 v28, 20, v28
	;; [unrolled: 1-line block ×3, first 2 shown]
	v_and_or_b32 v27, v27, s38, v26
	v_and_b32_e32 v28, 0x100000, v28
	v_and_b32_e32 v25, 0x10000000, v25
	v_or3_b32 v25, v28, v25, v27
	v_lshrrev_b32_e32 v27, 8, v27
	v_and_b32_e32 v26, 31, v26
	v_and_b32_e32 v27, 31, v27
	v_cvt_f16_u16_e32 v26, v26
	v_cvt_f16_u16_e32 v27, v27
	v_pack_b32_f16 v26, v26, v27
	v_and_b32_sdwa v27, v25, v150 dst_sel:DWORD dst_unused:UNUSED_PAD src0_sel:WORD_1 src1_sel:DWORD
	v_cvt_f16_u16_sdwa v25, v25 dst_sel:DWORD dst_unused:UNUSED_PAD src0_sel:BYTE_3
	v_cvt_f16_u16_e32 v27, v27
	v_mul_u32_u24_sdwa v28, v24, s46 dst_sel:DWORD dst_unused:UNUSED_PAD src0_sel:WORD_0 src1_sel:DWORD
	v_mul_u32_u24_sdwa v24, v24, s46 dst_sel:DWORD dst_unused:UNUSED_PAD src0_sel:WORD_1 src1_sel:DWORD
	v_pack_b32_f16 v25, v27, v25
	v_pk_fma_f16 v26, v26, v28, v24
	v_pk_fma_f16 v24, v25, v28, v24
	;; [unrolled: 1-line block ×4, first 2 shown]
	v_lshl_add_u64 v[24:25], s[20:21], 0, v[98:99]
	v_mad_u64_u32 v[26:27], s[12:13], v130, 24, v[24:25]
	v_lshl_add_u64 v[28:29], v[26:27], 0, v[62:63]
	global_load_dword v28, v[28:29], off offset:8
	v_mad_u64_u32 v[24:25], s[12:13], v128, 24, v[24:25]
	global_load_dwordx2 v[26:27], v[26:27], off
	s_waitcnt vmcnt(1)
	v_ashrrev_i32_e32 v28, v145, v28
	v_and_b32_e32 v28, 0xf0f0f0f, v28
	s_waitcnt vmcnt(0)
	v_lshrrev_b32_e32 v29, v144, v27
	v_lshlrev_b32_e32 v29, 4, v29
	v_and_or_b32 v28, v29, 16, v28
	v_lshrrev_b32_e32 v29, v146, v27
	v_lshrrev_b32_e32 v155, v147, v27
	;; [unrolled: 1-line block ×3, first 2 shown]
	v_lshlrev_b32_e32 v29, 12, v29
	v_lshlrev_b32_e32 v155, 20, v155
	;; [unrolled: 1-line block ×3, first 2 shown]
	v_and_or_b32 v29, v29, s38, v28
	v_and_b32_e32 v155, 0x100000, v155
	v_and_b32_e32 v27, 0x10000000, v27
	v_or3_b32 v27, v155, v27, v29
	v_lshrrev_b32_e32 v29, 8, v29
	v_and_b32_e32 v28, 31, v28
	v_and_b32_e32 v29, 31, v29
	v_cvt_f16_u16_e32 v28, v28
	v_cvt_f16_u16_e32 v29, v29
	v_pack_b32_f16 v28, v28, v29
	v_and_b32_sdwa v29, v27, v150 dst_sel:DWORD dst_unused:UNUSED_PAD src0_sel:WORD_1 src1_sel:DWORD
	v_cvt_f16_u16_sdwa v27, v27 dst_sel:DWORD dst_unused:UNUSED_PAD src0_sel:BYTE_3
	v_cvt_f16_u16_e32 v29, v29
	v_mul_u32_u24_sdwa v155, v26, s46 dst_sel:DWORD dst_unused:UNUSED_PAD src0_sel:WORD_0 src1_sel:DWORD
	v_mul_u32_u24_sdwa v26, v26, s46 dst_sel:DWORD dst_unused:UNUSED_PAD src0_sel:WORD_1 src1_sel:DWORD
	v_pack_b32_f16 v27, v29, v27
	v_pk_fma_f16 v28, v28, v155, v26
	v_pk_fma_f16 v26, v27, v155, v26
	;; [unrolled: 1-line block ×4, first 2 shown]
	v_lshl_add_u64 v[26:27], v[24:25], 0, v[64:65]
	global_load_dword v26, v[26:27], off offset:8
	s_nop 0
	global_load_dwordx2 v[24:25], v[24:25], off
	s_waitcnt vmcnt(1)
	v_ashrrev_i32_e32 v26, v145, v26
	v_and_b32_e32 v26, 0xf0f0f0f, v26
	s_waitcnt vmcnt(0)
	v_lshrrev_b32_e32 v27, v144, v25
	v_lshlrev_b32_e32 v27, 4, v27
	v_and_or_b32 v26, v27, 16, v26
	v_lshrrev_b32_e32 v27, v146, v25
	v_lshrrev_b32_e32 v28, v147, v25
	;; [unrolled: 1-line block ×3, first 2 shown]
	v_lshlrev_b32_e32 v27, 12, v27
	v_lshlrev_b32_e32 v28, 20, v28
	;; [unrolled: 1-line block ×3, first 2 shown]
	v_and_or_b32 v27, v27, s38, v26
	v_and_b32_e32 v28, 0x100000, v28
	v_and_b32_e32 v25, 0x10000000, v25
	v_or3_b32 v25, v28, v25, v27
	v_lshrrev_b32_e32 v27, 8, v27
	v_and_b32_e32 v26, 31, v26
	v_and_b32_e32 v27, 31, v27
	v_cvt_f16_u16_e32 v26, v26
	v_cvt_f16_u16_e32 v27, v27
	v_pack_b32_f16 v26, v26, v27
	v_and_b32_sdwa v27, v25, v150 dst_sel:DWORD dst_unused:UNUSED_PAD src0_sel:WORD_1 src1_sel:DWORD
	v_cvt_f16_u16_sdwa v25, v25 dst_sel:DWORD dst_unused:UNUSED_PAD src0_sel:BYTE_3
	v_cvt_f16_u16_e32 v27, v27
	v_mul_u32_u24_sdwa v28, v24, s46 dst_sel:DWORD dst_unused:UNUSED_PAD src0_sel:WORD_0 src1_sel:DWORD
	v_mul_u32_u24_sdwa v24, v24, s46 dst_sel:DWORD dst_unused:UNUSED_PAD src0_sel:WORD_1 src1_sel:DWORD
	v_pack_b32_f16 v25, v27, v25
	v_pk_fma_f16 v26, v26, v28, v24
	v_pk_fma_f16 v24, v25, v28, v24
	;; [unrolled: 1-line block ×4, first 2 shown]
	v_lshl_add_u64 v[24:25], s[20:21], 0, v[100:101]
	v_mad_u64_u32 v[26:27], s[12:13], v130, 24, v[24:25]
	v_lshl_add_u64 v[28:29], v[26:27], 0, v[62:63]
	global_load_dword v28, v[28:29], off offset:8
	v_mul_u32_u24_sdwa v154, v21, s46 dst_sel:DWORD dst_unused:UNUSED_PAD src0_sel:WORD_0 src1_sel:DWORD
	global_load_dwordx2 v[26:27], v[26:27], off
	v_mad_u64_u32 v[24:25], s[12:13], v128, 24, v[24:25]
	s_waitcnt vmcnt(1)
	v_ashrrev_i32_e32 v28, v145, v28
	v_and_b32_e32 v28, 0xf0f0f0f, v28
	s_waitcnt vmcnt(0)
	v_lshrrev_b32_e32 v29, v144, v27
	v_lshlrev_b32_e32 v29, 4, v29
	v_and_or_b32 v28, v29, 16, v28
	v_lshrrev_b32_e32 v29, v146, v27
	v_lshrrev_b32_e32 v155, v147, v27
	v_lshrrev_b32_e32 v27, v148, v27
	v_lshlrev_b32_e32 v29, 12, v29
	v_lshlrev_b32_e32 v155, 20, v155
	;; [unrolled: 1-line block ×3, first 2 shown]
	v_and_or_b32 v29, v29, s38, v28
	v_and_b32_e32 v155, 0x100000, v155
	v_and_b32_e32 v27, 0x10000000, v27
	v_or3_b32 v27, v155, v27, v29
	v_lshrrev_b32_e32 v29, 8, v29
	v_and_b32_e32 v28, 31, v28
	v_and_b32_e32 v29, 31, v29
	v_cvt_f16_u16_e32 v28, v28
	v_cvt_f16_u16_e32 v29, v29
	v_pack_b32_f16 v28, v28, v29
	v_and_b32_sdwa v29, v27, v150 dst_sel:DWORD dst_unused:UNUSED_PAD src0_sel:WORD_1 src1_sel:DWORD
	v_cvt_f16_u16_sdwa v27, v27 dst_sel:DWORD dst_unused:UNUSED_PAD src0_sel:BYTE_3
	v_cvt_f16_u16_e32 v29, v29
	v_mul_u32_u24_sdwa v155, v26, s46 dst_sel:DWORD dst_unused:UNUSED_PAD src0_sel:WORD_0 src1_sel:DWORD
	v_mul_u32_u24_sdwa v26, v26, s46 dst_sel:DWORD dst_unused:UNUSED_PAD src0_sel:WORD_1 src1_sel:DWORD
	v_pack_b32_f16 v27, v29, v27
	v_pk_fma_f16 v28, v28, v155, v26
	v_pk_fma_f16 v26, v27, v155, v26
	;; [unrolled: 1-line block ×4, first 2 shown]
	v_lshl_add_u64 v[26:27], v[24:25], 0, v[64:65]
	global_load_dword v26, v[26:27], off offset:8
	s_nop 0
	global_load_dwordx2 v[24:25], v[24:25], off
	s_waitcnt vmcnt(1)
	v_ashrrev_i32_e32 v26, v145, v26
	v_and_b32_e32 v26, 0xf0f0f0f, v26
	s_waitcnt vmcnt(0)
	v_lshrrev_b32_e32 v27, v144, v25
	v_lshlrev_b32_e32 v27, 4, v27
	v_and_or_b32 v26, v27, 16, v26
	v_lshrrev_b32_e32 v27, v146, v25
	v_lshrrev_b32_e32 v30, v147, v25
	;; [unrolled: 1-line block ×3, first 2 shown]
	v_lshlrev_b32_e32 v27, 12, v27
	v_lshlrev_b32_e32 v30, 20, v30
	;; [unrolled: 1-line block ×3, first 2 shown]
	v_and_or_b32 v27, v27, s38, v26
	v_and_b32_e32 v30, 0x100000, v30
	v_and_b32_e32 v25, 0x10000000, v25
	v_or3_b32 v25, v30, v25, v27
	v_lshrrev_b32_e32 v27, 8, v27
	v_and_b32_e32 v26, 31, v26
	v_and_b32_e32 v27, 31, v27
	v_cvt_f16_u16_e32 v26, v26
	v_cvt_f16_u16_e32 v27, v27
	v_pack_b32_f16 v26, v26, v27
	v_and_b32_sdwa v27, v25, v150 dst_sel:DWORD dst_unused:UNUSED_PAD src0_sel:WORD_1 src1_sel:DWORD
	v_cvt_f16_u16_sdwa v25, v25 dst_sel:DWORD dst_unused:UNUSED_PAD src0_sel:BYTE_3
	v_cvt_f16_u16_e32 v27, v27
	v_mul_u32_u24_sdwa v30, v24, s46 dst_sel:DWORD dst_unused:UNUSED_PAD src0_sel:WORD_0 src1_sel:DWORD
	v_mul_u32_u24_sdwa v24, v24, s46 dst_sel:DWORD dst_unused:UNUSED_PAD src0_sel:WORD_1 src1_sel:DWORD
	v_pack_b32_f16 v25, v27, v25
	v_pk_fma_f16 v26, v26, v30, v24
	v_pk_fma_f16 v24, v25, v30, v24
	;; [unrolled: 1-line block ×4, first 2 shown]
	v_mul_u32_u24_sdwa v153, v21, s46 dst_sel:DWORD dst_unused:UNUSED_PAD src0_sel:WORD_1 src1_sel:DWORD
	v_lshl_add_u64 v[20:21], s[20:21], 0, v[102:103]
	v_mad_u64_u32 v[24:25], s[12:13], v130, 24, v[20:21]
	v_lshl_add_u64 v[26:27], v[24:25], 0, v[62:63]
	global_load_dword v26, v[26:27], off offset:8
	v_mad_u64_u32 v[20:21], s[12:13], v128, 24, v[20:21]
	global_load_dwordx2 v[24:25], v[24:25], off
	s_waitcnt vmcnt(1)
	v_ashrrev_i32_e32 v26, v145, v26
	v_and_b32_e32 v26, 0xf0f0f0f, v26
	s_waitcnt vmcnt(0)
	v_lshrrev_b32_e32 v27, v144, v25
	v_lshlrev_b32_e32 v27, 4, v27
	v_and_or_b32 v26, v27, 16, v26
	v_lshrrev_b32_e32 v27, v146, v25
	v_lshrrev_b32_e32 v154, v147, v25
	;; [unrolled: 1-line block ×3, first 2 shown]
	v_lshlrev_b32_e32 v27, 12, v27
	v_lshlrev_b32_e32 v154, 20, v154
	;; [unrolled: 1-line block ×3, first 2 shown]
	v_and_or_b32 v27, v27, s38, v26
	v_and_b32_e32 v154, 0x100000, v154
	v_and_b32_e32 v25, 0x10000000, v25
	v_or3_b32 v25, v154, v25, v27
	v_lshrrev_b32_e32 v27, 8, v27
	v_and_b32_e32 v26, 31, v26
	v_and_b32_e32 v27, 31, v27
	v_cvt_f16_u16_e32 v26, v26
	v_cvt_f16_u16_e32 v27, v27
	v_pack_b32_f16 v26, v26, v27
	v_and_b32_sdwa v27, v25, v150 dst_sel:DWORD dst_unused:UNUSED_PAD src0_sel:WORD_1 src1_sel:DWORD
	v_cvt_f16_u16_sdwa v25, v25 dst_sel:DWORD dst_unused:UNUSED_PAD src0_sel:BYTE_3
	v_cvt_f16_u16_e32 v27, v27
	v_mul_u32_u24_sdwa v154, v24, s46 dst_sel:DWORD dst_unused:UNUSED_PAD src0_sel:WORD_0 src1_sel:DWORD
	v_mul_u32_u24_sdwa v24, v24, s46 dst_sel:DWORD dst_unused:UNUSED_PAD src0_sel:WORD_1 src1_sel:DWORD
	v_pack_b32_f16 v25, v27, v25
	v_pk_fma_f16 v26, v26, v154, v24
	v_pk_fma_f16 v24, v25, v154, v24
	;; [unrolled: 1-line block ×4, first 2 shown]
	v_lshl_add_u64 v[24:25], v[20:21], 0, v[64:65]
	global_load_dword v24, v[24:25], off offset:8
	s_nop 0
	global_load_dwordx2 v[20:21], v[20:21], off
	s_waitcnt vmcnt(1)
	v_ashrrev_i32_e32 v24, v145, v24
	v_and_b32_e32 v24, 0xf0f0f0f, v24
	s_waitcnt vmcnt(0)
	v_lshrrev_b32_e32 v25, v144, v21
	v_lshlrev_b32_e32 v25, 4, v25
	v_and_or_b32 v24, v25, 16, v24
	v_lshrrev_b32_e32 v25, v146, v21
	v_lshrrev_b32_e32 v26, v147, v21
	;; [unrolled: 1-line block ×3, first 2 shown]
	v_lshlrev_b32_e32 v25, 12, v25
	v_lshlrev_b32_e32 v26, 20, v26
	;; [unrolled: 1-line block ×3, first 2 shown]
	v_and_or_b32 v25, v25, s38, v24
	v_and_b32_e32 v26, 0x100000, v26
	v_and_b32_e32 v21, 0x10000000, v21
	v_or3_b32 v21, v26, v21, v25
	v_lshrrev_b32_e32 v25, 8, v25
	v_and_b32_e32 v24, 31, v24
	v_and_b32_e32 v25, 31, v25
	v_cvt_f16_u16_e32 v24, v24
	v_cvt_f16_u16_e32 v25, v25
	v_pack_b32_f16 v24, v24, v25
	v_and_b32_sdwa v25, v21, v150 dst_sel:DWORD dst_unused:UNUSED_PAD src0_sel:WORD_1 src1_sel:DWORD
	v_cvt_f16_u16_sdwa v21, v21 dst_sel:DWORD dst_unused:UNUSED_PAD src0_sel:BYTE_3
	v_cvt_f16_u16_e32 v25, v25
	v_mul_u32_u24_sdwa v26, v20, s46 dst_sel:DWORD dst_unused:UNUSED_PAD src0_sel:WORD_0 src1_sel:DWORD
	v_mul_u32_u24_sdwa v20, v20, s46 dst_sel:DWORD dst_unused:UNUSED_PAD src0_sel:WORD_1 src1_sel:DWORD
	v_pack_b32_f16 v21, v25, v21
	v_pk_fma_f16 v24, v24, v26, v20
	v_pk_fma_f16 v20, v21, v26, v20
	;; [unrolled: 1-line block ×4, first 2 shown]
	v_lshl_add_u64 v[20:21], s[20:21], 0, v[104:105]
	v_mad_u64_u32 v[24:25], s[12:13], v130, 24, v[20:21]
	v_lshl_add_u64 v[26:27], v[24:25], 0, v[62:63]
	global_load_dword v26, v[26:27], off offset:8
	v_mul_u32_u24_sdwa v153, v22, s46 dst_sel:DWORD dst_unused:UNUSED_PAD src0_sel:WORD_0 src1_sel:DWORD
	global_load_dwordx2 v[24:25], v[24:25], off
	v_mad_u64_u32 v[20:21], s[12:13], v128, 24, v[20:21]
	v_mul_u32_u24_sdwa v22, v22, s46 dst_sel:DWORD dst_unused:UNUSED_PAD src0_sel:WORD_1 src1_sel:DWORD
	s_waitcnt vmcnt(1)
	v_ashrrev_i32_e32 v26, v145, v26
	v_and_b32_e32 v26, 0xf0f0f0f, v26
	s_waitcnt vmcnt(0)
	v_lshrrev_b32_e32 v27, v144, v25
	v_lshlrev_b32_e32 v27, 4, v27
	v_and_or_b32 v26, v27, 16, v26
	v_lshrrev_b32_e32 v27, v146, v25
	v_lshrrev_b32_e32 v154, v147, v25
	;; [unrolled: 1-line block ×3, first 2 shown]
	v_lshlrev_b32_e32 v27, 12, v27
	v_lshlrev_b32_e32 v154, 20, v154
	;; [unrolled: 1-line block ×3, first 2 shown]
	v_and_or_b32 v27, v27, s38, v26
	v_and_b32_e32 v154, 0x100000, v154
	v_and_b32_e32 v25, 0x10000000, v25
	v_or3_b32 v25, v154, v25, v27
	v_lshrrev_b32_e32 v27, 8, v27
	v_and_b32_e32 v26, 31, v26
	v_and_b32_e32 v27, 31, v27
	v_cvt_f16_u16_e32 v26, v26
	v_cvt_f16_u16_e32 v27, v27
	v_pack_b32_f16 v26, v26, v27
	v_and_b32_sdwa v27, v25, v150 dst_sel:DWORD dst_unused:UNUSED_PAD src0_sel:WORD_1 src1_sel:DWORD
	v_cvt_f16_u16_sdwa v25, v25 dst_sel:DWORD dst_unused:UNUSED_PAD src0_sel:BYTE_3
	v_cvt_f16_u16_e32 v27, v27
	v_mul_u32_u24_sdwa v154, v24, s46 dst_sel:DWORD dst_unused:UNUSED_PAD src0_sel:WORD_0 src1_sel:DWORD
	v_mul_u32_u24_sdwa v24, v24, s46 dst_sel:DWORD dst_unused:UNUSED_PAD src0_sel:WORD_1 src1_sel:DWORD
	v_pack_b32_f16 v25, v27, v25
	v_pk_fma_f16 v26, v26, v154, v24
	v_pk_fma_f16 v24, v25, v154, v24
	;; [unrolled: 1-line block ×4, first 2 shown]
	v_lshl_add_u64 v[24:25], v[20:21], 0, v[64:65]
	global_load_dword v24, v[24:25], off offset:8
	s_nop 0
	global_load_dwordx2 v[20:21], v[20:21], off
	s_waitcnt vmcnt(1)
	v_ashrrev_i32_e32 v24, v145, v24
	v_and_b32_e32 v24, 0xf0f0f0f, v24
	s_waitcnt vmcnt(0)
	v_lshrrev_b32_e32 v25, v144, v21
	v_lshlrev_b32_e32 v25, 4, v25
	v_and_or_b32 v24, v25, 16, v24
	v_lshrrev_b32_e32 v25, v146, v21
	v_lshrrev_b32_e32 v26, v147, v21
	;; [unrolled: 1-line block ×3, first 2 shown]
	v_lshlrev_b32_e32 v25, 12, v25
	v_lshlrev_b32_e32 v26, 20, v26
	;; [unrolled: 1-line block ×3, first 2 shown]
	v_and_or_b32 v25, v25, s38, v24
	v_and_b32_e32 v26, 0x100000, v26
	v_and_b32_e32 v21, 0x10000000, v21
	v_or3_b32 v21, v26, v21, v25
	v_lshrrev_b32_e32 v25, 8, v25
	v_and_b32_e32 v24, 31, v24
	v_and_b32_e32 v25, 31, v25
	v_cvt_f16_u16_e32 v24, v24
	v_cvt_f16_u16_e32 v25, v25
	v_pack_b32_f16 v24, v24, v25
	v_and_b32_sdwa v25, v21, v150 dst_sel:DWORD dst_unused:UNUSED_PAD src0_sel:WORD_1 src1_sel:DWORD
	v_cvt_f16_u16_sdwa v21, v21 dst_sel:DWORD dst_unused:UNUSED_PAD src0_sel:BYTE_3
	v_cvt_f16_u16_e32 v25, v25
	v_mul_u32_u24_sdwa v26, v20, s46 dst_sel:DWORD dst_unused:UNUSED_PAD src0_sel:WORD_0 src1_sel:DWORD
	v_mul_u32_u24_sdwa v20, v20, s46 dst_sel:DWORD dst_unused:UNUSED_PAD src0_sel:WORD_1 src1_sel:DWORD
	v_pack_b32_f16 v21, v25, v21
	v_pk_fma_f16 v24, v24, v26, v20
	v_pk_fma_f16 v20, v21, v26, v20
	;; [unrolled: 1-line block ×4, first 2 shown]
	v_lshl_add_u64 v[20:21], s[20:21], 0, v[106:107]
	v_mad_u64_u32 v[24:25], s[12:13], v130, 24, v[20:21]
	v_lshl_add_u64 v[26:27], v[24:25], 0, v[62:63]
	global_load_dword v26, v[26:27], off offset:8
	v_mad_u64_u32 v[20:21], s[12:13], v128, 24, v[20:21]
	global_load_dwordx2 v[24:25], v[24:25], off
	s_waitcnt vmcnt(1)
	v_ashrrev_i32_e32 v26, v145, v26
	v_and_b32_e32 v26, 0xf0f0f0f, v26
	s_waitcnt vmcnt(0)
	v_lshrrev_b32_e32 v27, v144, v25
	v_lshlrev_b32_e32 v27, 4, v27
	v_and_or_b32 v26, v27, 16, v26
	v_lshrrev_b32_e32 v27, v146, v25
	v_lshrrev_b32_e32 v153, v147, v25
	;; [unrolled: 1-line block ×3, first 2 shown]
	v_lshlrev_b32_e32 v27, 12, v27
	v_lshlrev_b32_e32 v153, 20, v153
	;; [unrolled: 1-line block ×3, first 2 shown]
	v_and_or_b32 v27, v27, s38, v26
	v_and_b32_e32 v153, 0x100000, v153
	v_and_b32_e32 v25, 0x10000000, v25
	v_or3_b32 v25, v153, v25, v27
	v_lshrrev_b32_e32 v27, 8, v27
	v_and_b32_e32 v26, 31, v26
	v_and_b32_e32 v27, 31, v27
	v_cvt_f16_u16_e32 v26, v26
	v_cvt_f16_u16_e32 v27, v27
	v_pack_b32_f16 v26, v26, v27
	v_and_b32_sdwa v27, v25, v150 dst_sel:DWORD dst_unused:UNUSED_PAD src0_sel:WORD_1 src1_sel:DWORD
	v_cvt_f16_u16_sdwa v25, v25 dst_sel:DWORD dst_unused:UNUSED_PAD src0_sel:BYTE_3
	v_cvt_f16_u16_e32 v27, v27
	v_mul_u32_u24_sdwa v153, v24, s46 dst_sel:DWORD dst_unused:UNUSED_PAD src0_sel:WORD_0 src1_sel:DWORD
	v_mul_u32_u24_sdwa v24, v24, s46 dst_sel:DWORD dst_unused:UNUSED_PAD src0_sel:WORD_1 src1_sel:DWORD
	v_pack_b32_f16 v25, v27, v25
	v_pk_fma_f16 v26, v26, v153, v24
	v_pk_fma_f16 v24, v25, v153, v24
	;; [unrolled: 1-line block ×4, first 2 shown]
	v_lshl_add_u64 v[24:25], v[20:21], 0, v[64:65]
	global_load_dword v24, v[24:25], off offset:8
	s_nop 0
	global_load_dwordx2 v[20:21], v[20:21], off
	s_waitcnt vmcnt(1)
	v_ashrrev_i32_e32 v24, v145, v24
	v_and_b32_e32 v24, 0xf0f0f0f, v24
	s_waitcnt vmcnt(0)
	v_lshrrev_b32_e32 v25, v144, v21
	v_lshlrev_b32_e32 v25, 4, v25
	v_and_or_b32 v24, v25, 16, v24
	v_lshrrev_b32_e32 v25, v146, v21
	v_lshrrev_b32_e32 v26, v147, v21
	v_lshrrev_b32_e32 v21, v148, v21
	v_lshlrev_b32_e32 v25, 12, v25
	v_lshlrev_b32_e32 v26, 20, v26
	;; [unrolled: 1-line block ×3, first 2 shown]
	v_and_or_b32 v25, v25, s38, v24
	v_and_b32_e32 v26, 0x100000, v26
	v_and_b32_e32 v21, 0x10000000, v21
	v_or3_b32 v21, v26, v21, v25
	v_lshrrev_b32_e32 v25, 8, v25
	v_and_b32_e32 v24, 31, v24
	v_and_b32_e32 v25, 31, v25
	v_cvt_f16_u16_e32 v24, v24
	v_cvt_f16_u16_e32 v25, v25
	v_pack_b32_f16 v24, v24, v25
	v_and_b32_sdwa v25, v21, v150 dst_sel:DWORD dst_unused:UNUSED_PAD src0_sel:WORD_1 src1_sel:DWORD
	v_cvt_f16_u16_sdwa v21, v21 dst_sel:DWORD dst_unused:UNUSED_PAD src0_sel:BYTE_3
	v_cvt_f16_u16_e32 v25, v25
	v_mul_u32_u24_sdwa v26, v20, s46 dst_sel:DWORD dst_unused:UNUSED_PAD src0_sel:WORD_0 src1_sel:DWORD
	v_mul_u32_u24_sdwa v20, v20, s46 dst_sel:DWORD dst_unused:UNUSED_PAD src0_sel:WORD_1 src1_sel:DWORD
	v_pack_b32_f16 v21, v25, v21
	v_pk_fma_f16 v24, v24, v26, v20
	v_pk_fma_f16 v20, v21, v26, v20
	v_pk_fma_f16 v30, v24, v22, v30
	v_pk_fma_f16 v22, v20, v22, v31
	v_lshl_add_u64 v[20:21], s[20:21], 0, v[108:109]
	v_mad_u64_u32 v[24:25], s[12:13], v130, 24, v[20:21]
	v_lshl_add_u64 v[26:27], v[24:25], 0, v[62:63]
	global_load_dword v26, v[26:27], off offset:8
	v_mul_u32_u24_sdwa v31, v23, s46 dst_sel:DWORD dst_unused:UNUSED_PAD src0_sel:WORD_0 src1_sel:DWORD
	global_load_dwordx2 v[24:25], v[24:25], off
	v_mad_u64_u32 v[20:21], s[12:13], v128, 24, v[20:21]
	s_waitcnt vmcnt(1)
	v_ashrrev_i32_e32 v26, v145, v26
	v_and_b32_e32 v26, 0xf0f0f0f, v26
	s_waitcnt vmcnt(0)
	v_lshrrev_b32_e32 v27, v144, v25
	v_lshlrev_b32_e32 v27, 4, v27
	v_and_or_b32 v26, v27, 16, v26
	v_lshrrev_b32_e32 v27, v146, v25
	v_lshrrev_b32_e32 v153, v147, v25
	v_lshrrev_b32_e32 v25, v148, v25
	v_lshlrev_b32_e32 v27, 12, v27
	v_lshlrev_b32_e32 v153, 20, v153
	;; [unrolled: 1-line block ×3, first 2 shown]
	v_and_or_b32 v27, v27, s38, v26
	v_and_b32_e32 v153, 0x100000, v153
	v_and_b32_e32 v25, 0x10000000, v25
	v_or3_b32 v25, v153, v25, v27
	v_lshrrev_b32_e32 v27, 8, v27
	v_and_b32_e32 v26, 31, v26
	v_and_b32_e32 v27, 31, v27
	v_cvt_f16_u16_e32 v26, v26
	v_cvt_f16_u16_e32 v27, v27
	v_pack_b32_f16 v26, v26, v27
	v_and_b32_sdwa v27, v25, v150 dst_sel:DWORD dst_unused:UNUSED_PAD src0_sel:WORD_1 src1_sel:DWORD
	v_cvt_f16_u16_sdwa v25, v25 dst_sel:DWORD dst_unused:UNUSED_PAD src0_sel:BYTE_3
	v_cvt_f16_u16_e32 v27, v27
	v_mul_u32_u24_sdwa v153, v24, s46 dst_sel:DWORD dst_unused:UNUSED_PAD src0_sel:WORD_0 src1_sel:DWORD
	v_mul_u32_u24_sdwa v24, v24, s46 dst_sel:DWORD dst_unused:UNUSED_PAD src0_sel:WORD_1 src1_sel:DWORD
	v_pack_b32_f16 v25, v27, v25
	v_pk_fma_f16 v26, v26, v153, v24
	v_pk_fma_f16 v24, v25, v153, v24
	;; [unrolled: 1-line block ×4, first 2 shown]
	v_lshl_add_u64 v[24:25], v[20:21], 0, v[64:65]
	global_load_dword v24, v[24:25], off offset:8
	s_nop 0
	global_load_dwordx2 v[20:21], v[20:21], off
	s_waitcnt vmcnt(1)
	v_ashrrev_i32_e32 v24, v145, v24
	v_and_b32_e32 v24, 0xf0f0f0f, v24
	s_waitcnt vmcnt(0)
	v_lshrrev_b32_e32 v25, v144, v21
	v_lshlrev_b32_e32 v25, 4, v25
	v_and_or_b32 v24, v25, 16, v24
	v_lshrrev_b32_e32 v25, v146, v21
	v_lshrrev_b32_e32 v28, v147, v21
	;; [unrolled: 1-line block ×3, first 2 shown]
	v_lshlrev_b32_e32 v25, 12, v25
	v_lshlrev_b32_e32 v28, 20, v28
	;; [unrolled: 1-line block ×3, first 2 shown]
	v_and_or_b32 v25, v25, s38, v24
	v_and_b32_e32 v28, 0x100000, v28
	v_and_b32_e32 v21, 0x10000000, v21
	v_or3_b32 v21, v28, v21, v25
	v_lshrrev_b32_e32 v25, 8, v25
	v_and_b32_e32 v24, 31, v24
	v_and_b32_e32 v25, 31, v25
	v_cvt_f16_u16_e32 v24, v24
	v_cvt_f16_u16_e32 v25, v25
	v_pack_b32_f16 v24, v24, v25
	v_and_b32_sdwa v25, v21, v150 dst_sel:DWORD dst_unused:UNUSED_PAD src0_sel:WORD_1 src1_sel:DWORD
	v_cvt_f16_u16_sdwa v21, v21 dst_sel:DWORD dst_unused:UNUSED_PAD src0_sel:BYTE_3
	v_cvt_f16_u16_e32 v25, v25
	v_mul_u32_u24_sdwa v28, v20, s46 dst_sel:DWORD dst_unused:UNUSED_PAD src0_sel:WORD_0 src1_sel:DWORD
	v_mul_u32_u24_sdwa v20, v20, s46 dst_sel:DWORD dst_unused:UNUSED_PAD src0_sel:WORD_1 src1_sel:DWORD
	v_pack_b32_f16 v21, v25, v21
	v_pk_fma_f16 v24, v24, v28, v20
	v_pk_fma_f16 v20, v21, v28, v20
	;; [unrolled: 1-line block ×4, first 2 shown]
	v_lshl_add_u64 v[20:21], s[20:21], 0, v[110:111]
	v_mul_u32_u24_sdwa v30, v23, s46 dst_sel:DWORD dst_unused:UNUSED_PAD src0_sel:WORD_1 src1_sel:DWORD
	v_mad_u64_u32 v[22:23], s[12:13], v130, 24, v[20:21]
	v_lshl_add_u64 v[24:25], v[22:23], 0, v[62:63]
	global_load_dword v24, v[24:25], off offset:8
	v_mad_u64_u32 v[20:21], s[12:13], v128, 24, v[20:21]
	global_load_dwordx2 v[22:23], v[22:23], off
	s_waitcnt vmcnt(1)
	v_ashrrev_i32_e32 v24, v145, v24
	v_and_b32_e32 v24, 0xf0f0f0f, v24
	s_waitcnt vmcnt(0)
	v_lshrrev_b32_e32 v25, v144, v23
	v_lshlrev_b32_e32 v25, 4, v25
	v_and_or_b32 v24, v25, 16, v24
	v_lshrrev_b32_e32 v25, v146, v23
	v_lshrrev_b32_e32 v31, v147, v23
	;; [unrolled: 1-line block ×3, first 2 shown]
	v_lshlrev_b32_e32 v25, 12, v25
	v_lshlrev_b32_e32 v31, 20, v31
	;; [unrolled: 1-line block ×3, first 2 shown]
	v_and_or_b32 v25, v25, s38, v24
	v_and_b32_e32 v31, 0x100000, v31
	v_and_b32_e32 v23, 0x10000000, v23
	v_or3_b32 v23, v31, v23, v25
	v_lshrrev_b32_e32 v25, 8, v25
	v_and_b32_e32 v24, 31, v24
	v_and_b32_e32 v25, 31, v25
	v_cvt_f16_u16_e32 v24, v24
	v_cvt_f16_u16_e32 v25, v25
	v_pack_b32_f16 v24, v24, v25
	v_and_b32_sdwa v25, v23, v150 dst_sel:DWORD dst_unused:UNUSED_PAD src0_sel:WORD_1 src1_sel:DWORD
	v_cvt_f16_u16_sdwa v23, v23 dst_sel:DWORD dst_unused:UNUSED_PAD src0_sel:BYTE_3
	v_cvt_f16_u16_e32 v25, v25
	v_mul_u32_u24_sdwa v31, v22, s46 dst_sel:DWORD dst_unused:UNUSED_PAD src0_sel:WORD_0 src1_sel:DWORD
	v_mul_u32_u24_sdwa v22, v22, s46 dst_sel:DWORD dst_unused:UNUSED_PAD src0_sel:WORD_1 src1_sel:DWORD
	v_pack_b32_f16 v23, v25, v23
	v_pk_fma_f16 v24, v24, v31, v22
	v_pk_fma_f16 v22, v23, v31, v22
	;; [unrolled: 1-line block ×4, first 2 shown]
	v_lshl_add_u64 v[22:23], v[20:21], 0, v[64:65]
	global_load_dword v22, v[22:23], off offset:8
	s_nop 0
	global_load_dwordx2 v[20:21], v[20:21], off
	s_waitcnt vmcnt(1)
	v_ashrrev_i32_e32 v22, v145, v22
	v_and_b32_e32 v22, 0xf0f0f0f, v22
	s_waitcnt vmcnt(0)
	v_lshrrev_b32_e32 v23, v144, v21
	v_lshlrev_b32_e32 v23, 4, v23
	v_and_or_b32 v22, v23, 16, v22
	v_lshrrev_b32_e32 v23, v146, v21
	v_lshrrev_b32_e32 v24, v147, v21
	;; [unrolled: 1-line block ×3, first 2 shown]
	v_lshlrev_b32_e32 v23, 12, v23
	v_lshlrev_b32_e32 v24, 20, v24
	;; [unrolled: 1-line block ×3, first 2 shown]
	v_and_or_b32 v23, v23, s38, v22
	v_and_b32_e32 v24, 0x100000, v24
	v_and_b32_e32 v21, 0x10000000, v21
	v_or3_b32 v21, v24, v21, v23
	v_lshrrev_b32_e32 v23, 8, v23
	v_and_b32_e32 v22, 31, v22
	v_and_b32_e32 v23, 31, v23
	v_cvt_f16_u16_e32 v22, v22
	v_cvt_f16_u16_e32 v23, v23
	v_pack_b32_f16 v22, v22, v23
	v_and_b32_sdwa v23, v21, v150 dst_sel:DWORD dst_unused:UNUSED_PAD src0_sel:WORD_1 src1_sel:DWORD
	v_cvt_f16_u16_sdwa v21, v21 dst_sel:DWORD dst_unused:UNUSED_PAD src0_sel:BYTE_3
	v_cvt_f16_u16_e32 v23, v23
	v_mul_u32_u24_sdwa v24, v20, s46 dst_sel:DWORD dst_unused:UNUSED_PAD src0_sel:WORD_0 src1_sel:DWORD
	v_mul_u32_u24_sdwa v20, v20, s46 dst_sel:DWORD dst_unused:UNUSED_PAD src0_sel:WORD_1 src1_sel:DWORD
	v_pack_b32_f16 v21, v23, v21
	v_pk_fma_f16 v22, v22, v24, v20
	v_pk_fma_f16 v20, v21, v24, v20
	;; [unrolled: 1-line block ×4, first 2 shown]
	v_lshl_add_u64 v[20:21], s[20:21], 0, v[112:113]
	v_mad_u64_u32 v[22:23], s[12:13], v130, 24, v[20:21]
	v_lshl_add_u64 v[24:25], v[22:23], 0, v[62:63]
	global_load_dword v24, v[24:25], off offset:8
	s_waitcnt lgkmcnt(0)
	v_mul_u32_u24_sdwa v30, v16, s46 dst_sel:DWORD dst_unused:UNUSED_PAD src0_sel:WORD_0 src1_sel:DWORD
	global_load_dwordx2 v[22:23], v[22:23], off
	v_mad_u64_u32 v[20:21], s[12:13], v128, 24, v[20:21]
	v_mul_u32_u24_sdwa v16, v16, s46 dst_sel:DWORD dst_unused:UNUSED_PAD src0_sel:WORD_1 src1_sel:DWORD
	s_waitcnt vmcnt(1)
	v_ashrrev_i32_e32 v24, v145, v24
	v_and_b32_e32 v24, 0xf0f0f0f, v24
	s_waitcnt vmcnt(0)
	v_lshrrev_b32_e32 v25, v144, v23
	v_lshlrev_b32_e32 v25, 4, v25
	v_and_or_b32 v24, v25, 16, v24
	v_lshrrev_b32_e32 v25, v146, v23
	v_lshrrev_b32_e32 v31, v147, v23
	;; [unrolled: 1-line block ×3, first 2 shown]
	v_lshlrev_b32_e32 v25, 12, v25
	v_lshlrev_b32_e32 v31, 20, v31
	;; [unrolled: 1-line block ×3, first 2 shown]
	v_and_or_b32 v25, v25, s38, v24
	v_and_b32_e32 v31, 0x100000, v31
	v_and_b32_e32 v23, 0x10000000, v23
	v_or3_b32 v23, v31, v23, v25
	v_lshrrev_b32_e32 v25, 8, v25
	v_and_b32_e32 v24, 31, v24
	v_and_b32_e32 v25, 31, v25
	v_cvt_f16_u16_e32 v24, v24
	v_cvt_f16_u16_e32 v25, v25
	v_pack_b32_f16 v24, v24, v25
	v_and_b32_sdwa v25, v23, v150 dst_sel:DWORD dst_unused:UNUSED_PAD src0_sel:WORD_1 src1_sel:DWORD
	v_cvt_f16_u16_sdwa v23, v23 dst_sel:DWORD dst_unused:UNUSED_PAD src0_sel:BYTE_3
	v_cvt_f16_u16_e32 v25, v25
	v_mul_u32_u24_sdwa v31, v22, s46 dst_sel:DWORD dst_unused:UNUSED_PAD src0_sel:WORD_0 src1_sel:DWORD
	v_mul_u32_u24_sdwa v22, v22, s46 dst_sel:DWORD dst_unused:UNUSED_PAD src0_sel:WORD_1 src1_sel:DWORD
	v_pack_b32_f16 v23, v25, v23
	v_pk_fma_f16 v24, v24, v31, v22
	v_pk_fma_f16 v22, v23, v31, v22
	;; [unrolled: 1-line block ×4, first 2 shown]
	v_lshl_add_u64 v[22:23], v[20:21], 0, v[64:65]
	global_load_dword v22, v[22:23], off offset:8
	s_nop 0
	global_load_dwordx2 v[20:21], v[20:21], off
	s_waitcnt vmcnt(1)
	v_ashrrev_i32_e32 v22, v145, v22
	v_and_b32_e32 v22, 0xf0f0f0f, v22
	s_waitcnt vmcnt(0)
	v_lshrrev_b32_e32 v23, v144, v21
	v_lshlrev_b32_e32 v23, 4, v23
	v_and_or_b32 v22, v23, 16, v22
	v_lshrrev_b32_e32 v23, v146, v21
	v_lshrrev_b32_e32 v24, v147, v21
	;; [unrolled: 1-line block ×3, first 2 shown]
	v_lshlrev_b32_e32 v23, 12, v23
	v_lshlrev_b32_e32 v24, 20, v24
	;; [unrolled: 1-line block ×3, first 2 shown]
	v_and_or_b32 v23, v23, s38, v22
	v_and_b32_e32 v24, 0x100000, v24
	v_and_b32_e32 v21, 0x10000000, v21
	v_or3_b32 v21, v24, v21, v23
	v_lshrrev_b32_e32 v23, 8, v23
	v_and_b32_e32 v22, 31, v22
	v_and_b32_e32 v23, 31, v23
	v_cvt_f16_u16_e32 v22, v22
	v_cvt_f16_u16_e32 v23, v23
	v_pack_b32_f16 v22, v22, v23
	v_and_b32_sdwa v23, v21, v150 dst_sel:DWORD dst_unused:UNUSED_PAD src0_sel:WORD_1 src1_sel:DWORD
	v_cvt_f16_u16_sdwa v21, v21 dst_sel:DWORD dst_unused:UNUSED_PAD src0_sel:BYTE_3
	v_cvt_f16_u16_e32 v23, v23
	v_mul_u32_u24_sdwa v24, v20, s46 dst_sel:DWORD dst_unused:UNUSED_PAD src0_sel:WORD_0 src1_sel:DWORD
	v_mul_u32_u24_sdwa v20, v20, s46 dst_sel:DWORD dst_unused:UNUSED_PAD src0_sel:WORD_1 src1_sel:DWORD
	v_pack_b32_f16 v21, v23, v21
	v_pk_fma_f16 v22, v22, v24, v20
	v_pk_fma_f16 v20, v21, v24, v20
	;; [unrolled: 1-line block ×4, first 2 shown]
	v_lshl_add_u64 v[20:21], s[20:21], 0, v[114:115]
	v_mad_u64_u32 v[22:23], s[12:13], v130, 24, v[20:21]
	v_lshl_add_u64 v[24:25], v[22:23], 0, v[62:63]
	global_load_dword v24, v[24:25], off offset:8
	v_mad_u64_u32 v[20:21], s[12:13], v128, 24, v[20:21]
	global_load_dwordx2 v[22:23], v[22:23], off
	s_waitcnt vmcnt(1)
	v_ashrrev_i32_e32 v24, v145, v24
	v_and_b32_e32 v24, 0xf0f0f0f, v24
	s_waitcnt vmcnt(0)
	v_lshrrev_b32_e32 v25, v144, v23
	v_lshlrev_b32_e32 v25, 4, v25
	v_and_or_b32 v24, v25, 16, v24
	v_lshrrev_b32_e32 v25, v146, v23
	v_lshrrev_b32_e32 v30, v147, v23
	;; [unrolled: 1-line block ×3, first 2 shown]
	v_lshlrev_b32_e32 v25, 12, v25
	v_lshlrev_b32_e32 v30, 20, v30
	;; [unrolled: 1-line block ×3, first 2 shown]
	v_and_or_b32 v25, v25, s38, v24
	v_and_b32_e32 v30, 0x100000, v30
	v_and_b32_e32 v23, 0x10000000, v23
	v_or3_b32 v23, v30, v23, v25
	v_lshrrev_b32_e32 v25, 8, v25
	v_and_b32_e32 v24, 31, v24
	v_and_b32_e32 v25, 31, v25
	v_cvt_f16_u16_e32 v24, v24
	v_cvt_f16_u16_e32 v25, v25
	v_pack_b32_f16 v24, v24, v25
	v_and_b32_sdwa v25, v23, v150 dst_sel:DWORD dst_unused:UNUSED_PAD src0_sel:WORD_1 src1_sel:DWORD
	v_cvt_f16_u16_sdwa v23, v23 dst_sel:DWORD dst_unused:UNUSED_PAD src0_sel:BYTE_3
	v_cvt_f16_u16_e32 v25, v25
	v_mul_u32_u24_sdwa v30, v22, s46 dst_sel:DWORD dst_unused:UNUSED_PAD src0_sel:WORD_0 src1_sel:DWORD
	v_mul_u32_u24_sdwa v22, v22, s46 dst_sel:DWORD dst_unused:UNUSED_PAD src0_sel:WORD_1 src1_sel:DWORD
	v_pack_b32_f16 v23, v25, v23
	v_pk_fma_f16 v24, v24, v30, v22
	v_pk_fma_f16 v22, v23, v30, v22
	;; [unrolled: 1-line block ×4, first 2 shown]
	v_lshl_add_u64 v[22:23], v[20:21], 0, v[64:65]
	global_load_dword v22, v[22:23], off offset:8
	s_nop 0
	global_load_dwordx2 v[20:21], v[20:21], off
	s_waitcnt vmcnt(1)
	v_ashrrev_i32_e32 v22, v145, v22
	v_and_b32_e32 v22, 0xf0f0f0f, v22
	s_waitcnt vmcnt(0)
	v_lshrrev_b32_e32 v23, v144, v21
	v_lshlrev_b32_e32 v23, 4, v23
	v_and_or_b32 v22, v23, 16, v22
	v_lshrrev_b32_e32 v23, v146, v21
	v_lshrrev_b32_e32 v24, v147, v21
	;; [unrolled: 1-line block ×3, first 2 shown]
	v_lshlrev_b32_e32 v23, 12, v23
	v_lshlrev_b32_e32 v24, 20, v24
	;; [unrolled: 1-line block ×3, first 2 shown]
	v_and_or_b32 v23, v23, s38, v22
	v_and_b32_e32 v24, 0x100000, v24
	v_and_b32_e32 v21, 0x10000000, v21
	v_or3_b32 v21, v24, v21, v23
	v_lshrrev_b32_e32 v23, 8, v23
	v_and_b32_e32 v22, 31, v22
	v_and_b32_e32 v23, 31, v23
	v_cvt_f16_u16_e32 v22, v22
	v_cvt_f16_u16_e32 v23, v23
	v_pack_b32_f16 v22, v22, v23
	v_and_b32_sdwa v23, v21, v150 dst_sel:DWORD dst_unused:UNUSED_PAD src0_sel:WORD_1 src1_sel:DWORD
	v_cvt_f16_u16_sdwa v21, v21 dst_sel:DWORD dst_unused:UNUSED_PAD src0_sel:BYTE_3
	v_cvt_f16_u16_e32 v23, v23
	v_mul_u32_u24_sdwa v24, v20, s46 dst_sel:DWORD dst_unused:UNUSED_PAD src0_sel:WORD_0 src1_sel:DWORD
	v_mul_u32_u24_sdwa v20, v20, s46 dst_sel:DWORD dst_unused:UNUSED_PAD src0_sel:WORD_1 src1_sel:DWORD
	v_pack_b32_f16 v21, v23, v21
	v_pk_fma_f16 v22, v22, v24, v20
	v_pk_fma_f16 v20, v21, v24, v20
	v_pk_fma_f16 v28, v22, v16, v28
	v_pk_fma_f16 v16, v20, v16, v29
	v_lshl_add_u64 v[20:21], s[20:21], 0, v[116:117]
	v_mad_u64_u32 v[22:23], s[12:13], v130, 24, v[20:21]
	v_lshl_add_u64 v[24:25], v[22:23], 0, v[62:63]
	global_load_dword v24, v[24:25], off offset:8
	v_mul_u32_u24_sdwa v29, v17, s46 dst_sel:DWORD dst_unused:UNUSED_PAD src0_sel:WORD_0 src1_sel:DWORD
	global_load_dwordx2 v[22:23], v[22:23], off
	v_mad_u64_u32 v[20:21], s[12:13], v128, 24, v[20:21]
	s_waitcnt vmcnt(1)
	v_ashrrev_i32_e32 v24, v145, v24
	v_and_b32_e32 v24, 0xf0f0f0f, v24
	s_waitcnt vmcnt(0)
	v_lshrrev_b32_e32 v25, v144, v23
	v_lshlrev_b32_e32 v25, 4, v25
	v_and_or_b32 v24, v25, 16, v24
	v_lshrrev_b32_e32 v25, v146, v23
	v_lshrrev_b32_e32 v30, v147, v23
	;; [unrolled: 1-line block ×3, first 2 shown]
	v_lshlrev_b32_e32 v25, 12, v25
	v_lshlrev_b32_e32 v30, 20, v30
	;; [unrolled: 1-line block ×3, first 2 shown]
	v_and_or_b32 v25, v25, s38, v24
	v_and_b32_e32 v30, 0x100000, v30
	v_and_b32_e32 v23, 0x10000000, v23
	v_or3_b32 v23, v30, v23, v25
	v_lshrrev_b32_e32 v25, 8, v25
	v_and_b32_e32 v24, 31, v24
	v_and_b32_e32 v25, 31, v25
	v_cvt_f16_u16_e32 v24, v24
	v_cvt_f16_u16_e32 v25, v25
	v_pack_b32_f16 v24, v24, v25
	v_and_b32_sdwa v25, v23, v150 dst_sel:DWORD dst_unused:UNUSED_PAD src0_sel:WORD_1 src1_sel:DWORD
	v_cvt_f16_u16_sdwa v23, v23 dst_sel:DWORD dst_unused:UNUSED_PAD src0_sel:BYTE_3
	v_cvt_f16_u16_e32 v25, v25
	v_mul_u32_u24_sdwa v30, v22, s46 dst_sel:DWORD dst_unused:UNUSED_PAD src0_sel:WORD_0 src1_sel:DWORD
	v_mul_u32_u24_sdwa v22, v22, s46 dst_sel:DWORD dst_unused:UNUSED_PAD src0_sel:WORD_1 src1_sel:DWORD
	v_pack_b32_f16 v23, v25, v23
	v_pk_fma_f16 v24, v24, v30, v22
	v_pk_fma_f16 v22, v23, v30, v22
	v_pk_fma_f16 v24, v24, v29, v26
	v_pk_fma_f16 v25, v22, v29, v27
	v_lshl_add_u64 v[22:23], v[20:21], 0, v[64:65]
	global_load_dword v22, v[22:23], off offset:8
	s_nop 0
	global_load_dwordx2 v[20:21], v[20:21], off
	s_waitcnt vmcnt(1)
	v_ashrrev_i32_e32 v22, v145, v22
	v_and_b32_e32 v22, 0xf0f0f0f, v22
	s_waitcnt vmcnt(0)
	v_lshrrev_b32_e32 v23, v144, v21
	v_lshlrev_b32_e32 v23, 4, v23
	v_and_or_b32 v22, v23, 16, v22
	v_lshrrev_b32_e32 v23, v146, v21
	v_lshrrev_b32_e32 v26, v147, v21
	;; [unrolled: 1-line block ×3, first 2 shown]
	v_lshlrev_b32_e32 v23, 12, v23
	v_lshlrev_b32_e32 v26, 20, v26
	;; [unrolled: 1-line block ×3, first 2 shown]
	v_and_or_b32 v23, v23, s38, v22
	v_and_b32_e32 v26, 0x100000, v26
	v_and_b32_e32 v21, 0x10000000, v21
	v_or3_b32 v21, v26, v21, v23
	v_lshrrev_b32_e32 v23, 8, v23
	v_and_b32_e32 v22, 31, v22
	v_and_b32_e32 v23, 31, v23
	v_cvt_f16_u16_e32 v22, v22
	v_cvt_f16_u16_e32 v23, v23
	v_pack_b32_f16 v22, v22, v23
	v_and_b32_sdwa v23, v21, v150 dst_sel:DWORD dst_unused:UNUSED_PAD src0_sel:WORD_1 src1_sel:DWORD
	v_cvt_f16_u16_sdwa v21, v21 dst_sel:DWORD dst_unused:UNUSED_PAD src0_sel:BYTE_3
	v_cvt_f16_u16_e32 v23, v23
	v_mul_u32_u24_sdwa v26, v20, s46 dst_sel:DWORD dst_unused:UNUSED_PAD src0_sel:WORD_0 src1_sel:DWORD
	v_mul_u32_u24_sdwa v20, v20, s46 dst_sel:DWORD dst_unused:UNUSED_PAD src0_sel:WORD_1 src1_sel:DWORD
	v_pack_b32_f16 v21, v23, v21
	v_pk_fma_f16 v22, v22, v26, v20
	v_pk_fma_f16 v20, v21, v26, v20
	;; [unrolled: 1-line block ×4, first 2 shown]
	v_mul_u32_u24_sdwa v28, v17, s46 dst_sel:DWORD dst_unused:UNUSED_PAD src0_sel:WORD_1 src1_sel:DWORD
	v_lshl_add_u64 v[16:17], s[20:21], 0, v[118:119]
	v_mad_u64_u32 v[20:21], s[12:13], v130, 24, v[16:17]
	v_lshl_add_u64 v[22:23], v[20:21], 0, v[62:63]
	global_load_dword v22, v[22:23], off offset:8
	v_mad_u64_u32 v[16:17], s[12:13], v128, 24, v[16:17]
	global_load_dwordx2 v[20:21], v[20:21], off
	s_waitcnt vmcnt(1)
	v_ashrrev_i32_e32 v22, v145, v22
	v_and_b32_e32 v22, 0xf0f0f0f, v22
	s_waitcnt vmcnt(0)
	v_lshrrev_b32_e32 v23, v144, v21
	v_lshlrev_b32_e32 v23, 4, v23
	v_and_or_b32 v22, v23, 16, v22
	v_lshrrev_b32_e32 v23, v146, v21
	v_lshrrev_b32_e32 v29, v147, v21
	;; [unrolled: 1-line block ×3, first 2 shown]
	v_lshlrev_b32_e32 v23, 12, v23
	v_lshlrev_b32_e32 v29, 20, v29
	;; [unrolled: 1-line block ×3, first 2 shown]
	v_and_or_b32 v23, v23, s38, v22
	v_and_b32_e32 v29, 0x100000, v29
	v_and_b32_e32 v21, 0x10000000, v21
	v_or3_b32 v21, v29, v21, v23
	v_lshrrev_b32_e32 v23, 8, v23
	v_and_b32_e32 v22, 31, v22
	v_and_b32_e32 v23, 31, v23
	v_cvt_f16_u16_e32 v22, v22
	v_cvt_f16_u16_e32 v23, v23
	v_pack_b32_f16 v22, v22, v23
	v_and_b32_sdwa v23, v21, v150 dst_sel:DWORD dst_unused:UNUSED_PAD src0_sel:WORD_1 src1_sel:DWORD
	v_cvt_f16_u16_sdwa v21, v21 dst_sel:DWORD dst_unused:UNUSED_PAD src0_sel:BYTE_3
	v_cvt_f16_u16_e32 v23, v23
	v_mul_u32_u24_sdwa v29, v20, s46 dst_sel:DWORD dst_unused:UNUSED_PAD src0_sel:WORD_0 src1_sel:DWORD
	v_mul_u32_u24_sdwa v20, v20, s46 dst_sel:DWORD dst_unused:UNUSED_PAD src0_sel:WORD_1 src1_sel:DWORD
	v_pack_b32_f16 v21, v23, v21
	v_pk_fma_f16 v22, v22, v29, v20
	v_pk_fma_f16 v20, v21, v29, v20
	;; [unrolled: 1-line block ×4, first 2 shown]
	v_lshl_add_u64 v[20:21], v[16:17], 0, v[64:65]
	global_load_dword v20, v[20:21], off offset:8
	s_nop 0
	global_load_dwordx2 v[16:17], v[16:17], off
	s_waitcnt vmcnt(1)
	v_ashrrev_i32_e32 v20, v145, v20
	v_and_b32_e32 v20, 0xf0f0f0f, v20
	s_waitcnt vmcnt(0)
	v_lshrrev_b32_e32 v21, v144, v17
	v_lshlrev_b32_e32 v21, 4, v21
	v_and_or_b32 v20, v21, 16, v20
	v_lshrrev_b32_e32 v21, v146, v17
	v_lshrrev_b32_e32 v22, v147, v17
	;; [unrolled: 1-line block ×3, first 2 shown]
	v_lshlrev_b32_e32 v21, 12, v21
	v_lshlrev_b32_e32 v22, 20, v22
	;; [unrolled: 1-line block ×3, first 2 shown]
	v_and_or_b32 v21, v21, s38, v20
	v_and_b32_e32 v22, 0x100000, v22
	v_and_b32_e32 v17, 0x10000000, v17
	v_or3_b32 v17, v22, v17, v21
	v_lshrrev_b32_e32 v21, 8, v21
	v_and_b32_e32 v20, 31, v20
	v_and_b32_e32 v21, 31, v21
	v_cvt_f16_u16_e32 v20, v20
	v_cvt_f16_u16_e32 v21, v21
	v_pack_b32_f16 v20, v20, v21
	v_and_b32_sdwa v21, v17, v150 dst_sel:DWORD dst_unused:UNUSED_PAD src0_sel:WORD_1 src1_sel:DWORD
	v_cvt_f16_u16_sdwa v17, v17 dst_sel:DWORD dst_unused:UNUSED_PAD src0_sel:BYTE_3
	v_cvt_f16_u16_e32 v21, v21
	v_mul_u32_u24_sdwa v22, v16, s46 dst_sel:DWORD dst_unused:UNUSED_PAD src0_sel:WORD_0 src1_sel:DWORD
	v_mul_u32_u24_sdwa v16, v16, s46 dst_sel:DWORD dst_unused:UNUSED_PAD src0_sel:WORD_1 src1_sel:DWORD
	v_pack_b32_f16 v17, v21, v17
	v_pk_fma_f16 v20, v20, v22, v16
	v_pk_fma_f16 v16, v17, v22, v16
	;; [unrolled: 1-line block ×4, first 2 shown]
	v_lshl_add_u64 v[16:17], s[20:21], 0, v[120:121]
	v_mad_u64_u32 v[20:21], s[12:13], v130, 24, v[16:17]
	v_lshl_add_u64 v[22:23], v[20:21], 0, v[62:63]
	global_load_dword v22, v[22:23], off offset:8
	v_mul_u32_u24_sdwa v28, v18, s46 dst_sel:DWORD dst_unused:UNUSED_PAD src0_sel:WORD_0 src1_sel:DWORD
	global_load_dwordx2 v[20:21], v[20:21], off
	v_mad_u64_u32 v[16:17], s[12:13], v128, 24, v[16:17]
	v_mul_u32_u24_sdwa v18, v18, s46 dst_sel:DWORD dst_unused:UNUSED_PAD src0_sel:WORD_1 src1_sel:DWORD
	s_waitcnt vmcnt(1)
	v_ashrrev_i32_e32 v22, v145, v22
	v_and_b32_e32 v22, 0xf0f0f0f, v22
	s_waitcnt vmcnt(0)
	v_lshrrev_b32_e32 v23, v144, v21
	v_lshlrev_b32_e32 v23, 4, v23
	v_and_or_b32 v22, v23, 16, v22
	v_lshrrev_b32_e32 v23, v146, v21
	v_lshrrev_b32_e32 v29, v147, v21
	;; [unrolled: 1-line block ×3, first 2 shown]
	v_lshlrev_b32_e32 v23, 12, v23
	v_lshlrev_b32_e32 v29, 20, v29
	;; [unrolled: 1-line block ×3, first 2 shown]
	v_and_or_b32 v23, v23, s38, v22
	v_and_b32_e32 v29, 0x100000, v29
	v_and_b32_e32 v21, 0x10000000, v21
	v_or3_b32 v21, v29, v21, v23
	v_lshrrev_b32_e32 v23, 8, v23
	v_and_b32_e32 v22, 31, v22
	v_and_b32_e32 v23, 31, v23
	v_cvt_f16_u16_e32 v22, v22
	v_cvt_f16_u16_e32 v23, v23
	v_pack_b32_f16 v22, v22, v23
	v_and_b32_sdwa v23, v21, v150 dst_sel:DWORD dst_unused:UNUSED_PAD src0_sel:WORD_1 src1_sel:DWORD
	v_cvt_f16_u16_sdwa v21, v21 dst_sel:DWORD dst_unused:UNUSED_PAD src0_sel:BYTE_3
	v_cvt_f16_u16_e32 v23, v23
	v_mul_u32_u24_sdwa v29, v20, s46 dst_sel:DWORD dst_unused:UNUSED_PAD src0_sel:WORD_0 src1_sel:DWORD
	v_mul_u32_u24_sdwa v20, v20, s46 dst_sel:DWORD dst_unused:UNUSED_PAD src0_sel:WORD_1 src1_sel:DWORD
	v_pack_b32_f16 v21, v23, v21
	v_pk_fma_f16 v22, v22, v29, v20
	v_pk_fma_f16 v20, v21, v29, v20
	v_pk_fma_f16 v24, v22, v28, v24
	v_pk_fma_f16 v25, v20, v28, v25
	v_lshl_add_u64 v[20:21], v[16:17], 0, v[64:65]
	global_load_dword v20, v[20:21], off offset:8
	s_nop 0
	global_load_dwordx2 v[16:17], v[16:17], off
	s_waitcnt vmcnt(1)
	v_ashrrev_i32_e32 v20, v145, v20
	v_and_b32_e32 v20, 0xf0f0f0f, v20
	s_waitcnt vmcnt(0)
	v_lshrrev_b32_e32 v21, v144, v17
	v_lshlrev_b32_e32 v21, 4, v21
	v_and_or_b32 v20, v21, 16, v20
	v_lshrrev_b32_e32 v21, v146, v17
	v_lshrrev_b32_e32 v22, v147, v17
	;; [unrolled: 1-line block ×3, first 2 shown]
	v_lshlrev_b32_e32 v21, 12, v21
	v_lshlrev_b32_e32 v22, 20, v22
	;; [unrolled: 1-line block ×3, first 2 shown]
	v_and_or_b32 v21, v21, s38, v20
	v_and_b32_e32 v22, 0x100000, v22
	v_and_b32_e32 v17, 0x10000000, v17
	v_or3_b32 v17, v22, v17, v21
	v_lshrrev_b32_e32 v21, 8, v21
	v_and_b32_e32 v20, 31, v20
	v_and_b32_e32 v21, 31, v21
	v_cvt_f16_u16_e32 v20, v20
	v_cvt_f16_u16_e32 v21, v21
	v_pack_b32_f16 v20, v20, v21
	v_and_b32_sdwa v21, v17, v150 dst_sel:DWORD dst_unused:UNUSED_PAD src0_sel:WORD_1 src1_sel:DWORD
	v_cvt_f16_u16_sdwa v17, v17 dst_sel:DWORD dst_unused:UNUSED_PAD src0_sel:BYTE_3
	v_cvt_f16_u16_e32 v21, v21
	v_mul_u32_u24_sdwa v22, v16, s46 dst_sel:DWORD dst_unused:UNUSED_PAD src0_sel:WORD_0 src1_sel:DWORD
	v_mul_u32_u24_sdwa v16, v16, s46 dst_sel:DWORD dst_unused:UNUSED_PAD src0_sel:WORD_1 src1_sel:DWORD
	v_pack_b32_f16 v17, v21, v17
	v_pk_fma_f16 v20, v20, v22, v16
	v_pk_fma_f16 v16, v17, v22, v16
	;; [unrolled: 1-line block ×4, first 2 shown]
	v_lshl_add_u64 v[16:17], s[20:21], 0, v[122:123]
	v_mad_u64_u32 v[20:21], s[12:13], v130, 24, v[16:17]
	v_lshl_add_u64 v[22:23], v[20:21], 0, v[62:63]
	global_load_dword v22, v[22:23], off offset:8
	v_mad_u64_u32 v[16:17], s[12:13], v128, 24, v[16:17]
	global_load_dwordx2 v[20:21], v[20:21], off
	s_waitcnt vmcnt(1)
	v_ashrrev_i32_e32 v22, v145, v22
	v_and_b32_e32 v22, 0xf0f0f0f, v22
	s_waitcnt vmcnt(0)
	v_lshrrev_b32_e32 v23, v144, v21
	v_lshlrev_b32_e32 v23, 4, v23
	v_and_or_b32 v22, v23, 16, v22
	v_lshrrev_b32_e32 v23, v146, v21
	v_lshrrev_b32_e32 v28, v147, v21
	;; [unrolled: 1-line block ×3, first 2 shown]
	v_lshlrev_b32_e32 v23, 12, v23
	v_lshlrev_b32_e32 v28, 20, v28
	;; [unrolled: 1-line block ×3, first 2 shown]
	v_and_or_b32 v23, v23, s38, v22
	v_and_b32_e32 v28, 0x100000, v28
	v_and_b32_e32 v21, 0x10000000, v21
	v_or3_b32 v21, v28, v21, v23
	v_lshrrev_b32_e32 v23, 8, v23
	v_and_b32_e32 v22, 31, v22
	v_and_b32_e32 v23, 31, v23
	v_cvt_f16_u16_e32 v22, v22
	v_cvt_f16_u16_e32 v23, v23
	v_pack_b32_f16 v22, v22, v23
	v_and_b32_sdwa v23, v21, v150 dst_sel:DWORD dst_unused:UNUSED_PAD src0_sel:WORD_1 src1_sel:DWORD
	v_cvt_f16_u16_sdwa v21, v21 dst_sel:DWORD dst_unused:UNUSED_PAD src0_sel:BYTE_3
	v_cvt_f16_u16_e32 v23, v23
	v_mul_u32_u24_sdwa v28, v20, s46 dst_sel:DWORD dst_unused:UNUSED_PAD src0_sel:WORD_0 src1_sel:DWORD
	v_mul_u32_u24_sdwa v20, v20, s46 dst_sel:DWORD dst_unused:UNUSED_PAD src0_sel:WORD_1 src1_sel:DWORD
	v_pack_b32_f16 v21, v23, v21
	v_pk_fma_f16 v22, v22, v28, v20
	v_pk_fma_f16 v20, v21, v28, v20
	;; [unrolled: 1-line block ×4, first 2 shown]
	v_lshl_add_u64 v[20:21], v[16:17], 0, v[64:65]
	global_load_dword v20, v[20:21], off offset:8
	s_nop 0
	global_load_dwordx2 v[16:17], v[16:17], off
	s_waitcnt vmcnt(1)
	v_ashrrev_i32_e32 v20, v145, v20
	v_and_b32_e32 v20, 0xf0f0f0f, v20
	s_waitcnt vmcnt(0)
	v_lshrrev_b32_e32 v21, v144, v17
	v_lshlrev_b32_e32 v21, 4, v21
	v_and_or_b32 v20, v21, 16, v20
	v_lshrrev_b32_e32 v21, v146, v17
	v_lshrrev_b32_e32 v22, v147, v17
	v_lshrrev_b32_e32 v17, v148, v17
	v_lshlrev_b32_e32 v21, 12, v21
	v_lshlrev_b32_e32 v22, 20, v22
	;; [unrolled: 1-line block ×3, first 2 shown]
	v_and_or_b32 v21, v21, s38, v20
	v_and_b32_e32 v22, 0x100000, v22
	v_and_b32_e32 v17, 0x10000000, v17
	v_or3_b32 v17, v22, v17, v21
	v_lshrrev_b32_e32 v21, 8, v21
	v_and_b32_e32 v20, 31, v20
	v_and_b32_e32 v21, 31, v21
	v_cvt_f16_u16_e32 v20, v20
	v_cvt_f16_u16_e32 v21, v21
	v_pack_b32_f16 v20, v20, v21
	v_and_b32_sdwa v21, v17, v150 dst_sel:DWORD dst_unused:UNUSED_PAD src0_sel:WORD_1 src1_sel:DWORD
	v_cvt_f16_u16_sdwa v17, v17 dst_sel:DWORD dst_unused:UNUSED_PAD src0_sel:BYTE_3
	v_cvt_f16_u16_e32 v21, v21
	v_mul_u32_u24_sdwa v22, v16, s46 dst_sel:DWORD dst_unused:UNUSED_PAD src0_sel:WORD_0 src1_sel:DWORD
	v_mul_u32_u24_sdwa v16, v16, s46 dst_sel:DWORD dst_unused:UNUSED_PAD src0_sel:WORD_1 src1_sel:DWORD
	v_pack_b32_f16 v17, v21, v17
	v_pk_fma_f16 v20, v20, v22, v16
	v_pk_fma_f16 v16, v17, v22, v16
	;; [unrolled: 1-line block ×4, first 2 shown]
	v_lshl_add_u64 v[16:17], s[20:21], 0, v[124:125]
	v_mad_u64_u32 v[20:21], s[12:13], v130, 24, v[16:17]
	v_lshl_add_u64 v[22:23], v[20:21], 0, v[62:63]
	global_load_dword v22, v[22:23], off offset:8
	v_mul_u32_u24_sdwa v27, v19, s46 dst_sel:DWORD dst_unused:UNUSED_PAD src0_sel:WORD_0 src1_sel:DWORD
	global_load_dwordx2 v[20:21], v[20:21], off
	v_mad_u64_u32 v[16:17], s[12:13], v128, 24, v[16:17]
	s_waitcnt vmcnt(1)
	v_ashrrev_i32_e32 v22, v145, v22
	v_and_b32_e32 v22, 0xf0f0f0f, v22
	s_waitcnt vmcnt(0)
	v_lshrrev_b32_e32 v23, v144, v21
	v_lshlrev_b32_e32 v23, 4, v23
	v_and_or_b32 v22, v23, 16, v22
	v_lshrrev_b32_e32 v23, v146, v21
	v_lshrrev_b32_e32 v28, v147, v21
	;; [unrolled: 1-line block ×3, first 2 shown]
	v_lshlrev_b32_e32 v23, 12, v23
	v_lshlrev_b32_e32 v28, 20, v28
	;; [unrolled: 1-line block ×3, first 2 shown]
	v_and_or_b32 v23, v23, s38, v22
	v_and_b32_e32 v28, 0x100000, v28
	v_and_b32_e32 v21, 0x10000000, v21
	v_or3_b32 v21, v28, v21, v23
	v_lshrrev_b32_e32 v23, 8, v23
	v_and_b32_e32 v22, 31, v22
	v_and_b32_e32 v23, 31, v23
	v_cvt_f16_u16_e32 v22, v22
	v_cvt_f16_u16_e32 v23, v23
	v_pack_b32_f16 v22, v22, v23
	v_and_b32_sdwa v23, v21, v150 dst_sel:DWORD dst_unused:UNUSED_PAD src0_sel:WORD_1 src1_sel:DWORD
	v_cvt_f16_u16_sdwa v21, v21 dst_sel:DWORD dst_unused:UNUSED_PAD src0_sel:BYTE_3
	v_cvt_f16_u16_e32 v23, v23
	v_mul_u32_u24_sdwa v28, v20, s46 dst_sel:DWORD dst_unused:UNUSED_PAD src0_sel:WORD_0 src1_sel:DWORD
	v_mul_u32_u24_sdwa v20, v20, s46 dst_sel:DWORD dst_unused:UNUSED_PAD src0_sel:WORD_1 src1_sel:DWORD
	v_pack_b32_f16 v21, v23, v21
	v_pk_fma_f16 v22, v22, v28, v20
	v_pk_fma_f16 v20, v21, v28, v20
	;; [unrolled: 1-line block ×4, first 2 shown]
	v_lshl_add_u64 v[20:21], v[16:17], 0, v[64:65]
	global_load_dword v20, v[20:21], off offset:8
	s_nop 0
	global_load_dwordx2 v[16:17], v[16:17], off
	s_waitcnt vmcnt(1)
	v_ashrrev_i32_e32 v20, v145, v20
	v_and_b32_e32 v20, 0xf0f0f0f, v20
	s_waitcnt vmcnt(0)
	v_lshrrev_b32_e32 v21, v144, v17
	v_lshlrev_b32_e32 v21, 4, v21
	v_and_or_b32 v20, v21, 16, v20
	v_lshrrev_b32_e32 v21, v146, v17
	v_lshrrev_b32_e32 v24, v147, v17
	;; [unrolled: 1-line block ×3, first 2 shown]
	v_lshlrev_b32_e32 v21, 12, v21
	v_lshlrev_b32_e32 v24, 20, v24
	;; [unrolled: 1-line block ×3, first 2 shown]
	v_and_or_b32 v21, v21, s38, v20
	v_and_b32_e32 v24, 0x100000, v24
	v_and_b32_e32 v17, 0x10000000, v17
	v_or3_b32 v17, v24, v17, v21
	v_lshrrev_b32_e32 v21, 8, v21
	v_and_b32_e32 v20, 31, v20
	v_and_b32_e32 v21, 31, v21
	v_cvt_f16_u16_e32 v20, v20
	v_cvt_f16_u16_e32 v21, v21
	v_pack_b32_f16 v20, v20, v21
	v_and_b32_sdwa v21, v17, v150 dst_sel:DWORD dst_unused:UNUSED_PAD src0_sel:WORD_1 src1_sel:DWORD
	v_cvt_f16_u16_sdwa v17, v17 dst_sel:DWORD dst_unused:UNUSED_PAD src0_sel:BYTE_3
	v_cvt_f16_u16_e32 v21, v21
	v_mul_u32_u24_sdwa v24, v16, s46 dst_sel:DWORD dst_unused:UNUSED_PAD src0_sel:WORD_0 src1_sel:DWORD
	v_mul_u32_u24_sdwa v16, v16, s46 dst_sel:DWORD dst_unused:UNUSED_PAD src0_sel:WORD_1 src1_sel:DWORD
	v_pack_b32_f16 v17, v21, v17
	v_pk_fma_f16 v20, v20, v24, v16
	v_pk_fma_f16 v16, v17, v24, v16
	;; [unrolled: 1-line block ×4, first 2 shown]
	v_lshl_add_u64 v[16:17], s[20:21], 0, v[126:127]
	v_mul_u32_u24_sdwa v26, v19, s46 dst_sel:DWORD dst_unused:UNUSED_PAD src0_sel:WORD_1 src1_sel:DWORD
	v_mad_u64_u32 v[18:19], s[12:13], v130, 24, v[16:17]
	v_lshl_add_u64 v[20:21], v[18:19], 0, v[62:63]
	global_load_dword v20, v[20:21], off offset:8
	v_mad_u64_u32 v[16:17], s[12:13], v128, 24, v[16:17]
	global_load_dwordx2 v[18:19], v[18:19], off
	s_add_u32 s20, s20, s39
	s_addc_u32 s21, s21, 0
	s_lshl_b64 s[12:13], s[26:27], 1
	s_add_u32 s18, s18, s12
	s_addc_u32 s19, s19, s13
	s_cmp_ge_i32 s16, s42
	s_waitcnt vmcnt(1)
	v_ashrrev_i32_e32 v20, v145, v20
	v_and_b32_e32 v20, 0xf0f0f0f, v20
	s_waitcnt vmcnt(0)
	v_lshrrev_b32_e32 v21, v144, v19
	v_lshlrev_b32_e32 v21, 4, v21
	v_and_or_b32 v20, v21, 16, v20
	v_lshrrev_b32_e32 v21, v146, v19
	v_lshrrev_b32_e32 v27, v147, v19
	;; [unrolled: 1-line block ×3, first 2 shown]
	v_lshlrev_b32_e32 v21, 12, v21
	v_lshlrev_b32_e32 v27, 20, v27
	;; [unrolled: 1-line block ×3, first 2 shown]
	v_and_or_b32 v21, v21, s38, v20
	v_and_b32_e32 v27, 0x100000, v27
	v_and_b32_e32 v19, 0x10000000, v19
	v_or3_b32 v19, v27, v19, v21
	v_lshrrev_b32_e32 v21, 8, v21
	v_and_b32_e32 v20, 31, v20
	v_and_b32_e32 v21, 31, v21
	v_cvt_f16_u16_e32 v20, v20
	v_cvt_f16_u16_e32 v21, v21
	v_pack_b32_f16 v20, v20, v21
	v_and_b32_sdwa v21, v19, v150 dst_sel:DWORD dst_unused:UNUSED_PAD src0_sel:WORD_1 src1_sel:DWORD
	v_cvt_f16_u16_sdwa v19, v19 dst_sel:DWORD dst_unused:UNUSED_PAD src0_sel:BYTE_3
	v_cvt_f16_u16_e32 v21, v21
	v_mul_u32_u24_sdwa v27, v18, s46 dst_sel:DWORD dst_unused:UNUSED_PAD src0_sel:WORD_0 src1_sel:DWORD
	v_mul_u32_u24_sdwa v18, v18, s46 dst_sel:DWORD dst_unused:UNUSED_PAD src0_sel:WORD_1 src1_sel:DWORD
	v_pack_b32_f16 v19, v21, v19
	v_pk_fma_f16 v20, v20, v27, v18
	v_pk_fma_f16 v18, v19, v27, v18
	v_pk_fma_f16 v20, v20, v26, v22
	v_pk_fma_f16 v21, v18, v26, v23
	v_lshl_add_u64 v[18:19], v[16:17], 0, v[64:65]
	global_load_dword v18, v[18:19], off offset:8
	s_nop 0
	global_load_dwordx2 v[16:17], v[16:17], off
	s_waitcnt vmcnt(1)
	v_ashrrev_i32_e32 v18, v145, v18
	v_and_b32_e32 v18, 0xf0f0f0f, v18
	s_waitcnt vmcnt(0)
	v_lshrrev_b32_e32 v19, v144, v17
	v_lshlrev_b32_e32 v19, 4, v19
	v_and_or_b32 v18, v19, 16, v18
	v_lshrrev_b32_e32 v19, v146, v17
	v_lshrrev_b32_e32 v22, v147, v17
	;; [unrolled: 1-line block ×3, first 2 shown]
	v_lshlrev_b32_e32 v19, 12, v19
	v_lshlrev_b32_e32 v22, 20, v22
	;; [unrolled: 1-line block ×3, first 2 shown]
	v_and_or_b32 v19, v19, s38, v18
	v_and_b32_e32 v22, 0x100000, v22
	v_and_b32_e32 v17, 0x10000000, v17
	v_or3_b32 v17, v22, v17, v19
	v_lshrrev_b32_e32 v19, 8, v19
	v_and_b32_e32 v18, 31, v18
	v_and_b32_e32 v19, 31, v19
	v_cvt_f16_u16_e32 v18, v18
	v_cvt_f16_u16_e32 v19, v19
	v_pack_b32_f16 v18, v18, v19
	v_and_b32_sdwa v19, v17, v150 dst_sel:DWORD dst_unused:UNUSED_PAD src0_sel:WORD_1 src1_sel:DWORD
	v_cvt_f16_u16_sdwa v17, v17 dst_sel:DWORD dst_unused:UNUSED_PAD src0_sel:BYTE_3
	v_cvt_f16_u16_e32 v19, v19
	v_mul_u32_u24_sdwa v22, v16, s46 dst_sel:DWORD dst_unused:UNUSED_PAD src0_sel:WORD_0 src1_sel:DWORD
	v_mul_u32_u24_sdwa v16, v16, s46 dst_sel:DWORD dst_unused:UNUSED_PAD src0_sel:WORD_1 src1_sel:DWORD
	v_pack_b32_f16 v17, v19, v17
	v_pk_fma_f16 v18, v18, v22, v16
	v_pk_fma_f16 v16, v17, v22, v16
	;; [unrolled: 1-line block ×4, first 2 shown]
	s_cbranch_scc1 .LBB23_26
; %bb.24:                               ;   in Loop: Header=BB23_15 Depth=1
	v_mov_b32_e32 v24, v152
	s_branch .LBB23_15
.LBB23_25:
	v_mov_b32_e32 v20, 0
	v_mov_b32_e32 v152, 0xfeffffff
	;; [unrolled: 1-line block ×5, first 2 shown]
.LBB23_26:
	s_cmp_lg_u64 s[24:25], 0
	v_or_b32_e32 v0, s3, v51
	s_cselect_b64 s[4:5], -1, 0
	v_cmp_eq_u32_e32 vcc, 0, v0
	s_and_b64 s[6:7], vcc, s[4:5]
	s_and_saveexec_b64 s[4:5], s[6:7]
	s_cbranch_execz .LBB23_28
; %bb.27:
	s_lshl_b64 s[6:7], s[40:41], 2
	s_add_u32 s6, s24, s6
	s_addc_u32 s7, s25, s7
	s_load_dword s6, s[6:7], 0x0
	v_max_f32_e32 v0, v152, v152
	s_mov_b32 s7, 0x3fb8aa3b
	s_mov_b32 s8, 0x42b17218
	s_waitcnt lgkmcnt(0)
	v_max_f32_e64 v1, s6, s6
	v_max_f32_e32 v0, v0, v1
	v_sub_f32_e32 v1, s6, v0
	v_mul_f32_e32 v2, 0x3fb8aa3b, v1
	v_fma_f32 v3, v1, s7, -v2
	v_rndne_f32_e32 v4, v2
	v_fmac_f32_e32 v3, 0x32a5705f, v1
	v_sub_f32_e32 v2, v2, v4
	v_add_f32_e32 v2, v2, v3
	v_cvt_i32_f32_e32 v3, v4
	v_exp_f32_e32 v2, v2
	s_mov_b32 s6, 0xc2ce8ed0
	v_cmp_ngt_f32_e32 vcc, s6, v1
	v_ldexp_f32 v2, v2, v3
	v_sub_f32_e32 v3, v152, v0
	v_mul_f32_e32 v4, 0x3fb8aa3b, v3
	v_fma_f32 v5, v3, s7, -v4
	v_rndne_f32_e32 v6, v4
	v_fmac_f32_e32 v5, 0x32a5705f, v3
	v_sub_f32_e32 v4, v4, v6
	v_add_f32_e32 v4, v4, v5
	v_exp_f32_e32 v4, v4
	v_cvt_i32_f32_e32 v5, v6
	v_cndmask_b32_e32 v2, 0, v2, vcc
	v_mov_b32_e32 v6, 0x7f800000
	v_cmp_nlt_f32_e32 vcc, s8, v1
	v_mov_b32_e32 v152, v0
	s_nop 0
	v_cndmask_b32_e32 v1, v6, v2, vcc
	v_ldexp_f32 v2, v4, v5
	v_cmp_ngt_f32_e32 vcc, s6, v3
	s_nop 1
	v_cndmask_b32_e32 v2, 0, v2, vcc
	v_cmp_nlt_f32_e32 vcc, s8, v3
	s_nop 1
	v_cndmask_b32_e32 v2, v6, v2, vcc
	v_cvt_f16_f32_e32 v3, v2
	v_cmp_eq_u32_e32 vcc, 0, v129
	s_nop 1
	v_cndmask_b32_e32 v1, 0, v1, vcc
	v_fmac_f32_e32 v1, v136, v2
	v_mul_u32_u24_e32 v2, 0x10001, v3
	v_pk_mul_f16 v20, v20, v2
	v_pk_mul_f16 v21, v21, v2
	;; [unrolled: 1-line block ×4, first 2 shown]
	v_mov_b32_e32 v136, v1
.LBB23_28:
	s_or_b64 exec, exec, s[4:5]
	s_and_saveexec_b64 s[4:5], s[14:15]
; %bb.29:
	v_mov_b32_e32 v0, 0xfeffffff
	v_mov_b32_e32 v1, 0
	v_add_u32_e32 v2, 0x800, v135
	ds_write2_b32 v2, v0, v1 offset1:32
; %bb.30:
	s_or_b64 exec, exec, s[4:5]
	v_cmp_eq_u32_e32 vcc, 0, v129
	v_lshlrev_b32_e32 v4, 2, v51
	s_waitcnt lgkmcnt(0)
	s_barrier
	s_and_saveexec_b64 s[4:5], vcc
; %bb.31:
	ds_write_b32 v4, v152 offset:2048
; %bb.32:
	s_or_b64 exec, exec, s[4:5]
	v_mbcnt_hi_u32_b32 v0, -1, v131
	v_and_b32_e32 v1, 0x60, v0
	s_waitcnt lgkmcnt(0)
	s_barrier
	v_add_u32_e32 v3, 32, v1
	ds_read_b32 v1, v135 offset:2048
	v_xor_b32_e32 v2, 16, v0
	v_cmp_lt_i32_e64 s[4:5], v2, v3
	v_xor_b32_e32 v6, 8, v0
	v_xor_b32_e32 v9, 1, v0
	v_cndmask_b32_e64 v2, v0, v2, s[4:5]
	v_lshlrev_b32_e32 v5, 2, v2
	s_waitcnt lgkmcnt(0)
	ds_bpermute_b32 v2, v5, v1
	v_cmp_lt_i32_e64 s[4:5], v6, v3
	v_max_f32_e32 v1, v1, v1
	v_lshlrev_b32_e32 v14, 3, v129
	v_cndmask_b32_e64 v6, v0, v6, s[4:5]
	s_waitcnt lgkmcnt(0)
	v_max_f32_e32 v2, v2, v2
	v_lshlrev_b32_e32 v6, 2, v6
	v_max_f32_e32 v2, v1, v2
	ds_bpermute_b32 v7, v6, v2
	v_xor_b32_e32 v1, 4, v0
	v_cmp_lt_i32_e64 s[4:5], v1, v3
	s_waitcnt lgkmcnt(0)
	v_max_f32_e32 v7, v7, v7
	v_cndmask_b32_e64 v1, v0, v1, s[4:5]
	v_lshlrev_b32_e32 v1, 2, v1
	v_max_f32_e32 v7, v2, v7
	ds_bpermute_b32 v8, v1, v7
	v_xor_b32_e32 v2, 2, v0
	v_cmp_lt_i32_e64 s[4:5], v2, v3
	s_waitcnt lgkmcnt(0)
	v_max_f32_e32 v8, v8, v8
	v_cndmask_b32_e64 v2, v0, v2, s[4:5]
	v_lshlrev_b32_e32 v2, 2, v2
	v_max_f32_e32 v7, v7, v8
	ds_bpermute_b32 v8, v2, v7
	v_cmp_lt_i32_e64 s[4:5], v9, v3
	s_nop 1
	v_cndmask_b32_e64 v0, v0, v9, s[4:5]
	v_lshlrev_b32_e32 v3, 2, v0
	s_waitcnt lgkmcnt(0)
	v_max_f32_e32 v0, v8, v8
	v_max_f32_e32 v0, v7, v0
	ds_bpermute_b32 v7, v3, v0
	s_mov_b32 s4, 0x3fb8aa3b
	s_waitcnt lgkmcnt(0)
	v_max_f32_e32 v7, v7, v7
	v_max_f32_e32 v0, v0, v7
	v_sub_f32_e32 v7, v152, v0
	v_mul_f32_e32 v8, 0x3fb8aa3b, v7
	v_fma_f32 v9, v7, s4, -v8
	v_rndne_f32_e32 v10, v8
	v_fmamk_f32 v9, v7, 0x32a5705f, v9
	v_sub_f32_e32 v8, v8, v10
	v_add_f32_e32 v8, v8, v9
	v_exp_f32_e32 v8, v8
	v_cvt_i32_f32_e32 v9, v10
	s_mov_b32 s4, 0xc2ce8ed0
	v_cmp_ngt_f32_e64 s[4:5], s4, v7
	v_ldexp_f32 v8, v8, v9
	s_nop 0
	v_cndmask_b32_e64 v8, 0, v8, s[4:5]
	s_mov_b32 s4, 0x42b17218
	v_mov_b32_e32 v9, 0x7f800000
	v_cmp_nlt_f32_e64 s[4:5], s4, v7
	s_nop 1
	v_cndmask_b32_e64 v7, v9, v8, s[4:5]
	v_mul_f32_e32 v8, v136, v7
	ds_bpermute_b32 v8, v5, v8
	s_load_dword s4, s[0:1], 0xd4
	s_waitcnt lgkmcnt(0)
	v_fmac_f32_e32 v8, v136, v7
	ds_bpermute_b32 v9, v6, v8
	v_cvt_f16_f32_e32 v7, v7
	s_waitcnt lgkmcnt(0)
	v_add_f32_e32 v8, v8, v9
	ds_bpermute_b32 v9, v1, v8
	v_mul_u32_u24_e32 v13, 0x10001, v7
	v_pk_mul_f16 v10, v20, v13
	v_pk_mul_f16 v11, v21, v13
	;; [unrolled: 1-line block ×3, first 2 shown]
	s_waitcnt lgkmcnt(0)
	v_add_f32_e32 v8, v8, v9
	ds_bpermute_b32 v9, v2, v8
	v_pk_mul_f16 v13, v22, v13
	s_waitcnt lgkmcnt(0)
	v_add_f32_e32 v7, v8, v9
	ds_bpermute_b32 v8, v3, v7
	v_lshl_add_u32 v9, v51, 9, v14
	ds_write2_b64 v9, v[10:11], v[12:13] offset1:32
	s_and_saveexec_b64 s[0:1], vcc
	s_cbranch_execz .LBB23_34
; %bb.33:
	s_waitcnt lgkmcnt(1)
	v_add_f32_e32 v7, v7, v8
	ds_write_b32 v4, v7 offset:2176
.LBB23_34:
	s_or_b64 exec, exec, s[0:1]
	s_waitcnt lgkmcnt(0)
	s_barrier
	ds_read_b32 v4, v135 offset:2176
	s_mul_i32 s0, s33, s34
	s_add_i32 s0, s0, s2
	s_mul_i32 s0, s0, s35
	s_add_i32 s0, s0, s40
	s_waitcnt lgkmcnt(0)
	ds_bpermute_b32 v5, v5, v4
	s_mul_i32 s0, s4, s0
	s_add_i32 s2, s0, s3
	s_cmp_eq_u32 s4, 1
	s_waitcnt lgkmcnt(0)
	v_add_f32_e32 v4, v4, v5
	ds_bpermute_b32 v5, v6, v4
	ds_read_u16 v6, v134
	ds_read_u16 v7, v134 offset:512
	ds_read_u16 v8, v134 offset:1024
	;; [unrolled: 1-line block ×7, first 2 shown]
	s_waitcnt lgkmcnt(8)
	v_add_f32_e32 v4, v4, v5
	ds_bpermute_b32 v1, v1, v4
	s_waitcnt lgkmcnt(7)
	v_cvt_f32_f16_e32 v5, v7
	s_waitcnt lgkmcnt(0)
	v_add_f32_e32 v1, v4, v1
	ds_bpermute_b32 v2, v2, v1
	v_cvt_f32_f16_e32 v4, v6
	v_cvt_f32_f16_e32 v6, v8
	s_waitcnt lgkmcnt(0)
	v_add_f32_e32 v1, v1, v2
	ds_bpermute_b32 v2, v3, v1
	v_cvt_f32_f16_e32 v3, v9
	v_add_f32_e32 v4, 0, v4
	v_add_f32_e32 v4, v4, v5
	v_mov_b32_e32 v5, s29
	s_waitcnt lgkmcnt(0)
	v_add_f32_e32 v1, v1, v2
	v_add_f32_e32 v2, v4, v6
	;; [unrolled: 1-line block ×3, first 2 shown]
	v_div_scale_f32 v6, s[0:1], v1, v1, v3
	v_rcp_f32_e32 v7, v6
	s_cselect_b64 s[0:1], -1, 0
	v_lshl_or_b32 v2, s2, 8, v133
	v_mov_b32_e32 v4, s28
	v_fma_f32 v8, -v6, v7, 1.0
	v_fmac_f32_e32 v7, v8, v7
	v_div_scale_f32 v8, vcc, v3, v1, v3
	v_mul_f32_e32 v9, v8, v7
	v_fma_f32 v14, -v6, v9, v8
	v_fmac_f32_e32 v9, v14, v7
	v_fma_f32 v6, -v6, v9, v8
	v_div_fmas_f32 v6, v6, v7, v9
	v_div_fixup_f32 v6, v6, v1, v3
	v_cndmask_b32_e64 v6, v3, v6, s[0:1]
	v_cvt_f32_f16_e32 v3, v13
	v_cvt_f32_f16_e32 v7, v12
	;; [unrolled: 1-line block ×4, first 2 shown]
	v_add_f32_e32 v3, 0, v3
	v_add_f32_e32 v3, v3, v7
	;; [unrolled: 1-line block ×4, first 2 shown]
	v_div_scale_f32 v8, s[6:7], v1, v1, v7
	v_rcp_f32_e32 v9, v8
	v_mov_b32_e32 v3, 0
	v_lshl_add_u64 v[4:5], v[2:3], 2, v[4:5]
	global_store_dword v[4:5], v6, off
	v_fma_f32 v2, -v8, v9, 1.0
	v_fmac_f32_e32 v9, v2, v9
	v_div_scale_f32 v2, vcc, v7, v1, v7
	v_mul_f32_e32 v6, v2, v9
	v_fma_f32 v10, -v8, v6, v2
	v_fmac_f32_e32 v6, v10, v9
	v_fma_f32 v2, -v8, v6, v2
	v_div_fmas_f32 v2, v2, v9, v6
	v_div_fixup_f32 v2, v2, v1, v7
	s_cmp_lg_u32 s4, 1
	v_cndmask_b32_e64 v2, v7, v2, s[0:1]
	s_cselect_b64 s[0:1], -1, 0
	v_cmp_eq_u32_e32 vcc, 0, v133
	s_and_b64 s[0:1], vcc, s[0:1]
	global_store_dword v[4:5], v2, off offset:512
	s_and_saveexec_b64 s[4:5], s[0:1]
	s_cbranch_execz .LBB23_36
; %bb.35:
	s_mov_b32 s3, 0
	s_lshl_b64 s[0:1], s[2:3], 3
	s_add_u32 s0, s30, s0
	s_addc_u32 s1, s31, s1
	global_store_dwordx2 v3, v[0:1], s[0:1]
.LBB23_36:
	s_endpgm
	.section	.rodata,"a",@progbits
	.p2align	6, 0x0
	.amdhsa_kernel _ZL18flash_attn_ext_vecILi256ELi1EL9ggml_type7ELS0_7ELb0EEvPKcS2_S2_S2_S2_PKiPfP15HIP_vector_typeIfLj2EEffffjfiS6_IjLj3EEiiiiiiiiiiiliiliiiiil
		.amdhsa_group_segment_fixed_size 2304
		.amdhsa_private_segment_fixed_size 0
		.amdhsa_kernarg_size 464
		.amdhsa_user_sgpr_count 2
		.amdhsa_user_sgpr_dispatch_ptr 0
		.amdhsa_user_sgpr_queue_ptr 0
		.amdhsa_user_sgpr_kernarg_segment_ptr 1
		.amdhsa_user_sgpr_dispatch_id 0
		.amdhsa_user_sgpr_kernarg_preload_length 0
		.amdhsa_user_sgpr_kernarg_preload_offset 0
		.amdhsa_user_sgpr_private_segment_size 0
		.amdhsa_uses_dynamic_stack 0
		.amdhsa_enable_private_segment 0
		.amdhsa_system_sgpr_workgroup_id_x 1
		.amdhsa_system_sgpr_workgroup_id_y 1
		.amdhsa_system_sgpr_workgroup_id_z 1
		.amdhsa_system_sgpr_workgroup_info 0
		.amdhsa_system_vgpr_workitem_id 1
		.amdhsa_next_free_vgpr 165
		.amdhsa_next_free_sgpr 56
		.amdhsa_accum_offset 168
		.amdhsa_reserve_vcc 1
		.amdhsa_float_round_mode_32 0
		.amdhsa_float_round_mode_16_64 0
		.amdhsa_float_denorm_mode_32 3
		.amdhsa_float_denorm_mode_16_64 3
		.amdhsa_dx10_clamp 1
		.amdhsa_ieee_mode 1
		.amdhsa_fp16_overflow 0
		.amdhsa_tg_split 0
		.amdhsa_exception_fp_ieee_invalid_op 0
		.amdhsa_exception_fp_denorm_src 0
		.amdhsa_exception_fp_ieee_div_zero 0
		.amdhsa_exception_fp_ieee_overflow 0
		.amdhsa_exception_fp_ieee_underflow 0
		.amdhsa_exception_fp_ieee_inexact 0
		.amdhsa_exception_int_div_zero 0
	.end_amdhsa_kernel
	.section	.text._ZL18flash_attn_ext_vecILi256ELi1EL9ggml_type7ELS0_7ELb0EEvPKcS2_S2_S2_S2_PKiPfP15HIP_vector_typeIfLj2EEffffjfiS6_IjLj3EEiiiiiiiiiiiliiliiiiil,"axG",@progbits,_ZL18flash_attn_ext_vecILi256ELi1EL9ggml_type7ELS0_7ELb0EEvPKcS2_S2_S2_S2_PKiPfP15HIP_vector_typeIfLj2EEffffjfiS6_IjLj3EEiiiiiiiiiiiliiliiiiil,comdat
.Lfunc_end23:
	.size	_ZL18flash_attn_ext_vecILi256ELi1EL9ggml_type7ELS0_7ELb0EEvPKcS2_S2_S2_S2_PKiPfP15HIP_vector_typeIfLj2EEffffjfiS6_IjLj3EEiiiiiiiiiiiliiliiiiil, .Lfunc_end23-_ZL18flash_attn_ext_vecILi256ELi1EL9ggml_type7ELS0_7ELb0EEvPKcS2_S2_S2_S2_PKiPfP15HIP_vector_typeIfLj2EEffffjfiS6_IjLj3EEiiiiiiiiiiiliiliiiiil
                                        ; -- End function
	.set _ZL18flash_attn_ext_vecILi256ELi1EL9ggml_type7ELS0_7ELb0EEvPKcS2_S2_S2_S2_PKiPfP15HIP_vector_typeIfLj2EEffffjfiS6_IjLj3EEiiiiiiiiiiiliiliiiiil.num_vgpr, 165
	.set _ZL18flash_attn_ext_vecILi256ELi1EL9ggml_type7ELS0_7ELb0EEvPKcS2_S2_S2_S2_PKiPfP15HIP_vector_typeIfLj2EEffffjfiS6_IjLj3EEiiiiiiiiiiiliiliiiiil.num_agpr, 0
	.set _ZL18flash_attn_ext_vecILi256ELi1EL9ggml_type7ELS0_7ELb0EEvPKcS2_S2_S2_S2_PKiPfP15HIP_vector_typeIfLj2EEffffjfiS6_IjLj3EEiiiiiiiiiiiliiliiiiil.numbered_sgpr, 56
	.set _ZL18flash_attn_ext_vecILi256ELi1EL9ggml_type7ELS0_7ELb0EEvPKcS2_S2_S2_S2_PKiPfP15HIP_vector_typeIfLj2EEffffjfiS6_IjLj3EEiiiiiiiiiiiliiliiiiil.num_named_barrier, 0
	.set _ZL18flash_attn_ext_vecILi256ELi1EL9ggml_type7ELS0_7ELb0EEvPKcS2_S2_S2_S2_PKiPfP15HIP_vector_typeIfLj2EEffffjfiS6_IjLj3EEiiiiiiiiiiiliiliiiiil.private_seg_size, 0
	.set _ZL18flash_attn_ext_vecILi256ELi1EL9ggml_type7ELS0_7ELb0EEvPKcS2_S2_S2_S2_PKiPfP15HIP_vector_typeIfLj2EEffffjfiS6_IjLj3EEiiiiiiiiiiiliiliiiiil.uses_vcc, 1
	.set _ZL18flash_attn_ext_vecILi256ELi1EL9ggml_type7ELS0_7ELb0EEvPKcS2_S2_S2_S2_PKiPfP15HIP_vector_typeIfLj2EEffffjfiS6_IjLj3EEiiiiiiiiiiiliiliiiiil.uses_flat_scratch, 0
	.set _ZL18flash_attn_ext_vecILi256ELi1EL9ggml_type7ELS0_7ELb0EEvPKcS2_S2_S2_S2_PKiPfP15HIP_vector_typeIfLj2EEffffjfiS6_IjLj3EEiiiiiiiiiiiliiliiiiil.has_dyn_sized_stack, 0
	.set _ZL18flash_attn_ext_vecILi256ELi1EL9ggml_type7ELS0_7ELb0EEvPKcS2_S2_S2_S2_PKiPfP15HIP_vector_typeIfLj2EEffffjfiS6_IjLj3EEiiiiiiiiiiiliiliiiiil.has_recursion, 0
	.set _ZL18flash_attn_ext_vecILi256ELi1EL9ggml_type7ELS0_7ELb0EEvPKcS2_S2_S2_S2_PKiPfP15HIP_vector_typeIfLj2EEffffjfiS6_IjLj3EEiiiiiiiiiiiliiliiiiil.has_indirect_call, 0
	.section	.AMDGPU.csdata,"",@progbits
; Kernel info:
; codeLenInByte = 29776
; TotalNumSgprs: 62
; NumVgprs: 165
; NumAgprs: 0
; TotalNumVgprs: 165
; ScratchSize: 0
; MemoryBound: 0
; FloatMode: 240
; IeeeMode: 1
; LDSByteSize: 2304 bytes/workgroup (compile time only)
; SGPRBlocks: 7
; VGPRBlocks: 20
; NumSGPRsForWavesPerEU: 62
; NumVGPRsForWavesPerEU: 165
; AccumOffset: 168
; Occupancy: 3
; WaveLimiterHint : 0
; COMPUTE_PGM_RSRC2:SCRATCH_EN: 0
; COMPUTE_PGM_RSRC2:USER_SGPR: 2
; COMPUTE_PGM_RSRC2:TRAP_HANDLER: 0
; COMPUTE_PGM_RSRC2:TGID_X_EN: 1
; COMPUTE_PGM_RSRC2:TGID_Y_EN: 1
; COMPUTE_PGM_RSRC2:TGID_Z_EN: 1
; COMPUTE_PGM_RSRC2:TIDIG_COMP_CNT: 1
; COMPUTE_PGM_RSRC3_GFX90A:ACCUM_OFFSET: 41
; COMPUTE_PGM_RSRC3_GFX90A:TG_SPLIT: 0
	.section	.text._ZL33flash_attn_stream_k_fixup_uniformILi256ELi1ELi1EEvPfPK15HIP_vector_typeIfLj2EEiiiiiiS1_IjLj3EES5_S5_,"axG",@progbits,_ZL33flash_attn_stream_k_fixup_uniformILi256ELi1ELi1EEvPfPK15HIP_vector_typeIfLj2EEiiiiiiS1_IjLj3EES5_S5_,comdat
	.globl	_ZL33flash_attn_stream_k_fixup_uniformILi256ELi1ELi1EEvPfPK15HIP_vector_typeIfLj2EEiiiiiiS1_IjLj3EES5_S5_ ; -- Begin function _ZL33flash_attn_stream_k_fixup_uniformILi256ELi1ELi1EEvPfPK15HIP_vector_typeIfLj2EEiiiiiiS1_IjLj3EES5_S5_
	.p2align	8
	.type	_ZL33flash_attn_stream_k_fixup_uniformILi256ELi1ELi1EEvPfPK15HIP_vector_typeIfLj2EEiiiiiiS1_IjLj3EES5_S5_,@function
_ZL33flash_attn_stream_k_fixup_uniformILi256ELi1ELi1EEvPfPK15HIP_vector_typeIfLj2EEiiiiiiS1_IjLj3EES5_S5_: ; @_ZL33flash_attn_stream_k_fixup_uniformILi256ELi1ELi1EEvPfPK15HIP_vector_typeIfLj2EEiiiiiiS1_IjLj3EES5_S5_
; %bb.0:
	s_load_dwordx8 s[8:15], s[0:1], 0x1c
	s_load_dwordx2 s[6:7], s[0:1], 0x10
	s_load_dwordx4 s[16:19], s[0:1], 0x3c
	s_waitcnt lgkmcnt(0)
	s_mul_hi_u32 s5, s11, s2
	s_add_i32 s5, s2, s5
	s_lshr_b32 s5, s5, s12
	s_mul_i32 s11, s5, s13
	s_sub_i32 s12, s2, s11
	s_mul_hi_u32 s11, s12, s14
	s_add_i32 s11, s12, s11
	s_lshr_b32 s11, s11, s15
	s_mul_i32 s13, s11, s16
	s_sub_i32 s12, s12, s13
	;; [unrolled: 5-line block ×3, first 2 shown]
	s_add_i32 s17, s17, s3
	s_cmp_lt_i32 s17, s6
	s_cselect_b64 s[12:13], -1, 0
	s_add_i32 s16, s16, s4
	s_cmp_lt_i32 s16, s9
	s_cselect_b64 s[14:15], -1, 0
	s_and_b64 s[12:13], s[12:13], s[14:15]
	s_andn2_b64 vcc, exec, s[12:13]
	s_cbranch_vccnz .LBB24_6
; %bb.1:
	s_load_dwordx4 s[12:15], s[0:1], 0x0
	s_mul_i32 s5, s5, s6
	s_mul_i32 s11, s11, s9
	s_add_i32 s0, s17, s5
	s_mul_i32 s0, s0, s7
	s_add_i32 s1, s16, s11
	s_add_i32 s1, s1, s0
	v_lshl_or_b32 v4, s1, 8, v0
	s_waitcnt lgkmcnt(0)
	v_mov_b32_e32 v2, s12
	v_mov_b32_e32 v3, s13
	v_ashrrev_i32_e32 v5, 31, v4
	v_lshl_add_u64 v[2:3], v[4:5], 2, v[2:3]
	global_load_dword v5, v[2:3], off
	s_add_i32 s6, s3, s4
	s_mul_i32 s4, s10, s2
	s_add_i32 s5, s4, s10
	s_add_i32 s7, s6, s5
	s_add_i32 s0, s7, -1
	s_ashr_i32 s1, s0, 31
	s_lshl_b64 s[0:1], s[0:1], 3
	s_add_u32 s0, s14, s0
	s_addc_u32 s1, s15, s1
	s_load_dword s9, s[0:1], 0x4
	s_add_i32 s2, s5, -2
	s_cmp_lt_i32 s2, s4
	s_cbranch_scc1 .LBB24_4
; %bb.2:
	s_load_dword s0, s[0:1], 0x0
	s_lshl_b32 s2, s8, 2
	s_ashr_i32 s3, s2, 31
	s_lshl_b64 s[2:3], s[2:3], 2
	s_add_u32 s2, s14, s2
	v_lshl_or_b32 v0, s7, 8, v0
	s_addc_u32 s3, s15, s3
	s_add_i32 s5, s5, -1
	s_add_i32 s6, s6, s8
	v_add_u32_e32 v0, 0xfffffe00, v0
	s_waitcnt lgkmcnt(0)
	v_mov_b32_e32 v6, s0
	v_mov_b32_e32 v4, s9
	s_mov_b32 s7, 0x3fb8aa3b
	s_mov_b32 s8, 0xc2ce8ed0
	;; [unrolled: 1-line block ×3, first 2 shown]
	v_mov_b32_e32 v7, 0x7f800000
	s_mov_b32 s10, 0xc1a00000
.LBB24_3:                               ; =>This Inner Loop Header: Depth=1
	v_ashrrev_i32_e32 v1, 31, v0
	v_lshl_add_u64 v[8:9], v[0:1], 2, s[2:3]
	global_load_dword v9, v[8:9], off
	s_add_i32 s5, s5, -1
	s_add_i32 s0, s5, s6
	s_ashr_i32 s1, s0, 31
	s_lshl_b64 s[0:1], s[0:1], 3
	s_add_u32 s0, s14, s0
	s_addc_u32 s1, s15, s1
	s_load_dwordx2 s[0:1], s[0:1], 0x0
	v_max_f32_e32 v1, v6, v6
	v_add_u32_e32 v0, 0xffffff00, v0
	s_cmp_le_i32 s5, s4
	s_waitcnt lgkmcnt(0)
	v_max_f32_e64 v10, s0, s0
	v_max_f32_e32 v1, v1, v10
	v_sub_f32_e32 v11, s0, v1
	v_sub_f32_e32 v10, v6, v1
	v_mul_f32_e32 v12, 0x3fb8aa3b, v11
	v_mov_b32_e32 v6, v1
	v_mul_f32_e32 v1, 0x3fb8aa3b, v10
	v_fma_f32 v15, v11, s7, -v12
	v_rndne_f32_e32 v16, v12
	v_fma_f32 v13, v10, s7, -v1
	v_rndne_f32_e32 v14, v1
	v_fmac_f32_e32 v15, 0x32a5705f, v11
	v_sub_f32_e32 v12, v12, v16
	v_fmac_f32_e32 v13, 0x32a5705f, v10
	v_sub_f32_e32 v1, v1, v14
	v_add_f32_e32 v12, v12, v15
	v_cvt_i32_f32_e32 v16, v16
	v_add_f32_e32 v1, v1, v13
	v_exp_f32_e32 v12, v12
	v_cvt_i32_f32_e32 v14, v14
	v_exp_f32_e32 v1, v1
	v_cmp_ngt_f32_e32 vcc, s8, v11
	v_ldexp_f32 v12, v12, v16
	v_mov_b32_e32 v8, s1
	v_ldexp_f32 v1, v1, v14
	v_cmp_ngt_f32_e64 s[0:1], s8, v10
	v_cndmask_b32_e32 v12, 0, v12, vcc
	v_cmp_nlt_f32_e32 vcc, s9, v11
	v_cndmask_b32_e64 v1, 0, v1, s[0:1]
	v_cmp_nlt_f32_e64 s[0:1], s9, v10
	v_cndmask_b32_e32 v12, v7, v12, vcc
	v_cmp_le_f32_e32 vcc, s10, v11
	v_cndmask_b32_e64 v1, v7, v1, s[0:1]
	v_cmp_le_f32_e64 s[0:1], s10, v10
	v_cndmask_b32_e32 v12, 0, v12, vcc
	s_waitcnt vmcnt(0)
	v_pk_mul_f32 v[8:9], v[8:9], v[12:13] op_sel_hi:[1,0]
	v_cndmask_b32_e64 v10, 0, v1, s[0:1]
	v_pk_fma_f32 v[4:5], v[4:5], v[10:11], v[8:9] op_sel_hi:[1,0,1]
	s_cbranch_scc0 .LBB24_3
	s_branch .LBB24_5
.LBB24_4:
	s_waitcnt lgkmcnt(0)
	v_mov_b32_e32 v4, s9
.LBB24_5:
	s_waitcnt vmcnt(0)
	v_div_scale_f32 v0, s[0:1], v4, v4, v5
	v_rcp_f32_e32 v1, v0
	v_div_scale_f32 v6, vcc, v5, v4, v5
	v_fma_f32 v7, -v0, v1, 1.0
	v_fmac_f32_e32 v1, v7, v1
	v_mul_f32_e32 v7, v6, v1
	v_fma_f32 v8, -v0, v7, v6
	v_fmac_f32_e32 v7, v8, v1
	v_fma_f32 v0, -v0, v7, v6
	v_div_fmas_f32 v0, v0, v1, v7
	v_div_fixup_f32 v0, v0, v4, v5
	global_store_dword v[2:3], v0, off
.LBB24_6:
	s_endpgm
	.section	.rodata,"a",@progbits
	.p2align	6, 0x0
	.amdhsa_kernel _ZL33flash_attn_stream_k_fixup_uniformILi256ELi1ELi1EEvPfPK15HIP_vector_typeIfLj2EEiiiiiiS1_IjLj3EES5_S5_
		.amdhsa_group_segment_fixed_size 0
		.amdhsa_private_segment_fixed_size 0
		.amdhsa_kernarg_size 76
		.amdhsa_user_sgpr_count 2
		.amdhsa_user_sgpr_dispatch_ptr 0
		.amdhsa_user_sgpr_queue_ptr 0
		.amdhsa_user_sgpr_kernarg_segment_ptr 1
		.amdhsa_user_sgpr_dispatch_id 0
		.amdhsa_user_sgpr_kernarg_preload_length 0
		.amdhsa_user_sgpr_kernarg_preload_offset 0
		.amdhsa_user_sgpr_private_segment_size 0
		.amdhsa_uses_dynamic_stack 0
		.amdhsa_enable_private_segment 0
		.amdhsa_system_sgpr_workgroup_id_x 1
		.amdhsa_system_sgpr_workgroup_id_y 1
		.amdhsa_system_sgpr_workgroup_id_z 1
		.amdhsa_system_sgpr_workgroup_info 0
		.amdhsa_system_vgpr_workitem_id 0
		.amdhsa_next_free_vgpr 17
		.amdhsa_next_free_sgpr 20
		.amdhsa_accum_offset 20
		.amdhsa_reserve_vcc 1
		.amdhsa_float_round_mode_32 0
		.amdhsa_float_round_mode_16_64 0
		.amdhsa_float_denorm_mode_32 3
		.amdhsa_float_denorm_mode_16_64 3
		.amdhsa_dx10_clamp 1
		.amdhsa_ieee_mode 1
		.amdhsa_fp16_overflow 0
		.amdhsa_tg_split 0
		.amdhsa_exception_fp_ieee_invalid_op 0
		.amdhsa_exception_fp_denorm_src 0
		.amdhsa_exception_fp_ieee_div_zero 0
		.amdhsa_exception_fp_ieee_overflow 0
		.amdhsa_exception_fp_ieee_underflow 0
		.amdhsa_exception_fp_ieee_inexact 0
		.amdhsa_exception_int_div_zero 0
	.end_amdhsa_kernel
	.section	.text._ZL33flash_attn_stream_k_fixup_uniformILi256ELi1ELi1EEvPfPK15HIP_vector_typeIfLj2EEiiiiiiS1_IjLj3EES5_S5_,"axG",@progbits,_ZL33flash_attn_stream_k_fixup_uniformILi256ELi1ELi1EEvPfPK15HIP_vector_typeIfLj2EEiiiiiiS1_IjLj3EES5_S5_,comdat
.Lfunc_end24:
	.size	_ZL33flash_attn_stream_k_fixup_uniformILi256ELi1ELi1EEvPfPK15HIP_vector_typeIfLj2EEiiiiiiS1_IjLj3EES5_S5_, .Lfunc_end24-_ZL33flash_attn_stream_k_fixup_uniformILi256ELi1ELi1EEvPfPK15HIP_vector_typeIfLj2EEiiiiiiS1_IjLj3EES5_S5_
                                        ; -- End function
	.set _ZL33flash_attn_stream_k_fixup_uniformILi256ELi1ELi1EEvPfPK15HIP_vector_typeIfLj2EEiiiiiiS1_IjLj3EES5_S5_.num_vgpr, 17
	.set _ZL33flash_attn_stream_k_fixup_uniformILi256ELi1ELi1EEvPfPK15HIP_vector_typeIfLj2EEiiiiiiS1_IjLj3EES5_S5_.num_agpr, 0
	.set _ZL33flash_attn_stream_k_fixup_uniformILi256ELi1ELi1EEvPfPK15HIP_vector_typeIfLj2EEiiiiiiS1_IjLj3EES5_S5_.numbered_sgpr, 20
	.set _ZL33flash_attn_stream_k_fixup_uniformILi256ELi1ELi1EEvPfPK15HIP_vector_typeIfLj2EEiiiiiiS1_IjLj3EES5_S5_.num_named_barrier, 0
	.set _ZL33flash_attn_stream_k_fixup_uniformILi256ELi1ELi1EEvPfPK15HIP_vector_typeIfLj2EEiiiiiiS1_IjLj3EES5_S5_.private_seg_size, 0
	.set _ZL33flash_attn_stream_k_fixup_uniformILi256ELi1ELi1EEvPfPK15HIP_vector_typeIfLj2EEiiiiiiS1_IjLj3EES5_S5_.uses_vcc, 1
	.set _ZL33flash_attn_stream_k_fixup_uniformILi256ELi1ELi1EEvPfPK15HIP_vector_typeIfLj2EEiiiiiiS1_IjLj3EES5_S5_.uses_flat_scratch, 0
	.set _ZL33flash_attn_stream_k_fixup_uniformILi256ELi1ELi1EEvPfPK15HIP_vector_typeIfLj2EEiiiiiiS1_IjLj3EES5_S5_.has_dyn_sized_stack, 0
	.set _ZL33flash_attn_stream_k_fixup_uniformILi256ELi1ELi1EEvPfPK15HIP_vector_typeIfLj2EEiiiiiiS1_IjLj3EES5_S5_.has_recursion, 0
	.set _ZL33flash_attn_stream_k_fixup_uniformILi256ELi1ELi1EEvPfPK15HIP_vector_typeIfLj2EEiiiiiiS1_IjLj3EES5_S5_.has_indirect_call, 0
	.section	.AMDGPU.csdata,"",@progbits
; Kernel info:
; codeLenInByte = 756
; TotalNumSgprs: 26
; NumVgprs: 17
; NumAgprs: 0
; TotalNumVgprs: 17
; ScratchSize: 0
; MemoryBound: 0
; FloatMode: 240
; IeeeMode: 1
; LDSByteSize: 0 bytes/workgroup (compile time only)
; SGPRBlocks: 3
; VGPRBlocks: 2
; NumSGPRsForWavesPerEU: 26
; NumVGPRsForWavesPerEU: 17
; AccumOffset: 20
; Occupancy: 8
; WaveLimiterHint : 0
; COMPUTE_PGM_RSRC2:SCRATCH_EN: 0
; COMPUTE_PGM_RSRC2:USER_SGPR: 2
; COMPUTE_PGM_RSRC2:TRAP_HANDLER: 0
; COMPUTE_PGM_RSRC2:TGID_X_EN: 1
; COMPUTE_PGM_RSRC2:TGID_Y_EN: 1
; COMPUTE_PGM_RSRC2:TGID_Z_EN: 1
; COMPUTE_PGM_RSRC2:TIDIG_COMP_CNT: 0
; COMPUTE_PGM_RSRC3_GFX90A:ACCUM_OFFSET: 4
; COMPUTE_PGM_RSRC3_GFX90A:TG_SPLIT: 0
	.section	.text._ZL33flash_attn_stream_k_fixup_generalILi256ELi1ELi1EEvPfPK15HIP_vector_typeIfLj2EEiiiiS1_IjLj3EES5_S5_S5_,"axG",@progbits,_ZL33flash_attn_stream_k_fixup_generalILi256ELi1ELi1EEvPfPK15HIP_vector_typeIfLj2EEiiiiS1_IjLj3EES5_S5_S5_,comdat
	.globl	_ZL33flash_attn_stream_k_fixup_generalILi256ELi1ELi1EEvPfPK15HIP_vector_typeIfLj2EEiiiiS1_IjLj3EES5_S5_S5_ ; -- Begin function _ZL33flash_attn_stream_k_fixup_generalILi256ELi1ELi1EEvPfPK15HIP_vector_typeIfLj2EEiiiiS1_IjLj3EES5_S5_S5_
	.p2align	8
	.type	_ZL33flash_attn_stream_k_fixup_generalILi256ELi1ELi1EEvPfPK15HIP_vector_typeIfLj2EEiiiiS1_IjLj3EES5_S5_S5_,@function
_ZL33flash_attn_stream_k_fixup_generalILi256ELi1ELi1EEvPfPK15HIP_vector_typeIfLj2EEiiiiS1_IjLj3EES5_S5_S5_: ; @_ZL33flash_attn_stream_k_fixup_generalILi256ELi1ELi1EEvPfPK15HIP_vector_typeIfLj2EEiiiiS1_IjLj3EES5_S5_S5_
; %bb.0:
	s_load_dwordx4 s[8:11], s[0:1], 0x10
	s_load_dword s22, s[0:1], 0x50
	s_mov_b32 s12, 0
	s_waitcnt lgkmcnt(0)
	s_mul_hi_i32 s13, s11, s2
	s_cmp_lg_u64 s[12:13], 0
	s_mul_i32 s5, s11, s2
	s_cbranch_scc0 .LBB25_20
; %bb.1:
	s_add_u32 s6, s22, 0
	s_addc_u32 s7, 0, 0
	s_xor_b64 s[6:7], s[6:7], 0
	v_cvt_f32_u32_e32 v1, s6
	v_cvt_f32_u32_e32 v2, s7
	s_sub_u32 s12, 0, s6
	s_subb_u32 s18, 0, s7
	v_fmamk_f32 v1, v2, 0x4f800000, v1
	v_rcp_f32_e32 v1, v1
	s_nop 0
	v_mul_f32_e32 v1, 0x5f7ffffc, v1
	v_mul_f32_e32 v2, 0x2f800000, v1
	v_trunc_f32_e32 v2, v2
	v_fmamk_f32 v1, v2, 0xcf800000, v1
	v_cvt_u32_f32_e32 v2, v2
	v_cvt_u32_f32_e32 v1, v1
	v_readfirstlane_b32 s19, v2
	v_readfirstlane_b32 s14, v1
	s_mul_i32 s15, s12, s19
	s_mul_hi_u32 s21, s12, s14
	s_mul_i32 s20, s18, s14
	s_add_i32 s15, s21, s15
	s_add_i32 s15, s15, s20
	s_mul_i32 s23, s12, s14
	s_mul_i32 s21, s14, s15
	s_mul_hi_u32 s24, s14, s23
	s_mul_hi_u32 s20, s14, s15
	s_add_u32 s21, s24, s21
	s_addc_u32 s20, 0, s20
	s_mul_hi_u32 s25, s19, s23
	s_mul_i32 s23, s19, s23
	s_add_u32 s21, s21, s23
	s_mul_hi_u32 s24, s19, s15
	s_addc_u32 s20, s20, s25
	s_addc_u32 s21, s24, 0
	s_mul_i32 s15, s19, s15
	s_add_u32 s15, s20, s15
	s_addc_u32 s20, 0, s21
	s_add_u32 s21, s14, s15
	s_cselect_b64 s[14:15], -1, 0
	s_cmp_lg_u64 s[14:15], 0
	s_addc_u32 s19, s19, s20
	s_mul_i32 s14, s12, s19
	s_mul_hi_u32 s15, s12, s21
	s_add_i32 s14, s15, s14
	s_mul_i32 s18, s18, s21
	s_add_i32 s14, s14, s18
	s_mul_i32 s12, s12, s21
	s_mul_hi_u32 s18, s19, s12
	s_mul_i32 s20, s19, s12
	s_mul_i32 s24, s21, s14
	s_mul_hi_u32 s12, s21, s12
	s_mul_hi_u32 s23, s21, s14
	s_add_u32 s12, s12, s24
	s_addc_u32 s23, 0, s23
	s_add_u32 s12, s12, s20
	s_mul_hi_u32 s15, s19, s14
	s_addc_u32 s12, s23, s18
	s_addc_u32 s15, s15, 0
	s_mul_i32 s14, s19, s14
	s_add_u32 s12, s12, s14
	s_addc_u32 s18, 0, s15
	s_add_u32 s20, s21, s12
	s_cselect_b64 s[14:15], -1, 0
	s_cmp_lg_u64 s[14:15], 0
	s_addc_u32 s18, s19, s18
	s_ashr_i32 s14, s13, 31
	s_add_u32 s12, s5, s14
	s_mov_b32 s15, s14
	s_addc_u32 s13, s13, s14
	s_xor_b64 s[12:13], s[12:13], s[14:15]
	s_mul_i32 s21, s12, s18
	s_mul_hi_u32 s23, s12, s20
	s_mul_hi_u32 s19, s12, s18
	s_add_u32 s21, s23, s21
	s_addc_u32 s19, 0, s19
	s_mul_hi_u32 s24, s13, s20
	s_mul_i32 s20, s13, s20
	s_add_u32 s20, s21, s20
	s_mul_hi_u32 s23, s13, s18
	s_addc_u32 s19, s19, s24
	s_addc_u32 s20, s23, 0
	s_mul_i32 s18, s13, s18
	s_add_u32 s23, s19, s18
	s_addc_u32 s24, 0, s20
	s_mul_i32 s18, s6, s24
	s_mul_hi_u32 s19, s6, s23
	s_add_i32 s18, s19, s18
	s_mul_i32 s19, s7, s23
	s_add_i32 s25, s18, s19
	s_sub_i32 s20, s13, s25
	s_mul_i32 s18, s6, s23
	s_sub_u32 s12, s12, s18
	s_cselect_b64 s[18:19], -1, 0
	s_cmp_lg_u64 s[18:19], 0
	s_subb_u32 s26, s20, s7
	s_sub_u32 s27, s12, s6
	s_cselect_b64 s[20:21], -1, 0
	s_cmp_lg_u64 s[20:21], 0
	s_subb_u32 s20, s26, 0
	s_cmp_ge_u32 s20, s7
	s_cselect_b32 s21, -1, 0
	s_cmp_ge_u32 s27, s6
	s_cselect_b32 s26, -1, 0
	s_cmp_eq_u32 s20, s7
	s_cselect_b32 s20, s26, s21
	s_add_u32 s21, s23, 1
	s_addc_u32 s26, s24, 0
	s_add_u32 s27, s23, 2
	s_addc_u32 s28, s24, 0
	s_cmp_lg_u32 s20, 0
	s_cselect_b32 s20, s27, s21
	s_cselect_b32 s21, s28, s26
	s_cmp_lg_u64 s[18:19], 0
	s_subb_u32 s13, s13, s25
	s_cmp_ge_u32 s13, s7
	s_cselect_b32 s18, -1, 0
	s_cmp_ge_u32 s12, s6
	s_cselect_b32 s6, -1, 0
	s_cmp_eq_u32 s13, s7
	s_cselect_b32 s6, s6, s18
	s_cmp_lg_u32 s6, 0
	s_cselect_b32 s7, s21, s24
	s_cselect_b32 s6, s20, s23
	s_xor_b64 s[12:13], s[14:15], 0
	s_xor_b64 s[6:7], s[6:7], s[12:13]
	s_sub_u32 s6, s6, s12
	s_load_dwordx4 s[12:15], s[0:1], 0x44
	s_cbranch_execnz .LBB25_3
.LBB25_2:
	v_cvt_f32_u32_e32 v1, s22
	s_sub_i32 s6, 0, s22
	v_rcp_iflag_f32_e32 v1, v1
	s_nop 0
	v_mul_f32_e32 v1, 0x4f7ffffe, v1
	v_cvt_u32_f32_e32 v1, v1
	s_nop 0
	v_readfirstlane_b32 s7, v1
	s_mul_i32 s6, s6, s7
	s_mul_hi_u32 s6, s7, s6
	s_add_i32 s7, s7, s6
	s_mul_hi_u32 s6, s5, s7
	s_waitcnt lgkmcnt(0)
	s_mul_i32 s15, s6, s22
	s_sub_i32 s5, s5, s15
	s_add_i32 s7, s6, 1
	s_sub_i32 s15, s5, s22
	s_cmp_ge_u32 s5, s22
	s_cselect_b32 s6, s7, s6
	s_cselect_b32 s5, s15, s5
	s_add_i32 s7, s6, 1
	s_cmp_ge_u32 s5, s22
	s_cselect_b32 s6, s7, s6
.LBB25_3:
	s_add_i32 s5, s2, 1
	s_mul_hi_i32 s21, s11, s5
	s_mov_b32 s20, 0
	s_cmp_lg_u64 s[20:21], 0
	s_mul_i32 s5, s11, s5
	s_cbranch_scc0 .LBB25_21
; %bb.4:
	s_add_u32 s16, s22, 0
	s_addc_u32 s17, 0, 0
	s_xor_b64 s[18:19], s[16:17], 0
	v_cvt_f32_u32_e32 v1, s18
	v_cvt_f32_u32_e32 v2, s19
	s_sub_u32 s7, 0, s18
	s_waitcnt lgkmcnt(0)
	s_subb_u32 s15, 0, s19
	v_fmamk_f32 v1, v2, 0x4f800000, v1
	v_rcp_f32_e32 v1, v1
	s_nop 0
	v_mul_f32_e32 v1, 0x5f7ffffc, v1
	v_mul_f32_e32 v2, 0x2f800000, v1
	v_trunc_f32_e32 v2, v2
	v_fmamk_f32 v1, v2, 0xcf800000, v1
	v_cvt_u32_f32_e32 v2, v2
	v_cvt_u32_f32_e32 v1, v1
	v_readfirstlane_b32 s20, v2
	v_readfirstlane_b32 s23, v1
	s_mul_i32 s24, s7, s20
	s_mul_hi_u32 s26, s7, s23
	s_mul_i32 s25, s15, s23
	s_add_i32 s24, s26, s24
	s_add_i32 s24, s24, s25
	s_mul_i32 s27, s7, s23
	s_mul_i32 s26, s23, s24
	s_mul_hi_u32 s28, s23, s27
	s_mul_hi_u32 s25, s23, s24
	s_add_u32 s26, s28, s26
	s_addc_u32 s25, 0, s25
	s_mul_hi_u32 s29, s20, s27
	s_mul_i32 s27, s20, s27
	s_add_u32 s26, s26, s27
	s_mul_hi_u32 s28, s20, s24
	s_addc_u32 s25, s25, s29
	s_addc_u32 s26, s28, 0
	s_mul_i32 s24, s20, s24
	s_add_u32 s24, s25, s24
	s_addc_u32 s26, 0, s26
	s_add_u32 s23, s23, s24
	s_cselect_b64 s[24:25], -1, 0
	s_cmp_lg_u64 s[24:25], 0
	s_addc_u32 s20, s20, s26
	s_mul_i32 s24, s7, s20
	s_mul_hi_u32 s25, s7, s23
	s_add_i32 s24, s25, s24
	s_mul_i32 s15, s15, s23
	s_add_i32 s24, s24, s15
	s_mul_i32 s7, s7, s23
	s_mul_hi_u32 s25, s20, s7
	s_mul_i32 s26, s20, s7
	s_mul_i32 s28, s23, s24
	s_mul_hi_u32 s7, s23, s7
	s_mul_hi_u32 s27, s23, s24
	s_add_u32 s7, s7, s28
	s_addc_u32 s27, 0, s27
	s_add_u32 s7, s7, s26
	s_mul_hi_u32 s15, s20, s24
	s_addc_u32 s7, s27, s25
	s_addc_u32 s15, s15, 0
	s_mul_i32 s24, s20, s24
	s_add_u32 s7, s7, s24
	s_addc_u32 s15, 0, s15
	s_add_u32 s7, s23, s7
	s_cselect_b64 s[24:25], -1, 0
	s_cmp_lg_u64 s[24:25], 0
	s_addc_u32 s15, s20, s15
	s_ashr_i32 s24, s21, 31
	s_add_u32 s20, s5, s24
	s_mov_b32 s25, s24
	s_addc_u32 s21, s21, s24
	s_xor_b64 s[20:21], s[20:21], s[24:25]
	s_mul_i32 s26, s20, s15
	s_mul_hi_u32 s27, s20, s7
	s_mul_hi_u32 s23, s20, s15
	s_add_u32 s26, s27, s26
	s_addc_u32 s23, 0, s23
	s_mul_hi_u32 s28, s21, s7
	s_mul_i32 s7, s21, s7
	s_add_u32 s7, s26, s7
	s_mul_hi_u32 s27, s21, s15
	s_addc_u32 s7, s23, s28
	s_addc_u32 s23, s27, 0
	s_mul_i32 s15, s21, s15
	s_add_u32 s7, s7, s15
	s_addc_u32 s15, 0, s23
	s_mul_i32 s23, s18, s15
	s_mul_hi_u32 s26, s18, s7
	s_add_i32 s23, s26, s23
	s_mul_i32 s26, s19, s7
	s_add_i32 s23, s23, s26
	s_sub_i32 s28, s21, s23
	s_mul_i32 s26, s18, s7
	s_sub_u32 s20, s20, s26
	s_cselect_b64 s[26:27], -1, 0
	s_cmp_lg_u64 s[26:27], 0
	s_subb_u32 s30, s28, s19
	s_sub_u32 s31, s20, s18
	s_cselect_b64 s[28:29], -1, 0
	s_cmp_lg_u64 s[28:29], 0
	s_subb_u32 s28, s30, 0
	s_cmp_ge_u32 s28, s19
	s_cselect_b32 s29, -1, 0
	s_cmp_ge_u32 s31, s18
	s_cselect_b32 s30, -1, 0
	s_cmp_eq_u32 s28, s19
	s_cselect_b32 s28, s30, s29
	s_add_u32 s29, s7, 1
	s_addc_u32 s30, s15, 0
	s_add_u32 s31, s7, 2
	s_addc_u32 s33, s15, 0
	s_cmp_lg_u32 s28, 0
	s_cselect_b32 s28, s31, s29
	s_cselect_b32 s29, s33, s30
	s_cmp_lg_u64 s[26:27], 0
	s_subb_u32 s21, s21, s23
	s_cmp_ge_u32 s21, s19
	s_cselect_b32 s23, -1, 0
	s_cmp_ge_u32 s20, s18
	s_cselect_b32 s18, -1, 0
	s_cmp_eq_u32 s21, s19
	s_cselect_b32 s18, s18, s23
	s_cmp_lg_u32 s18, 0
	s_cselect_b32 s19, s29, s15
	s_cselect_b32 s18, s28, s7
	s_xor_b64 s[20:21], s[24:25], 0
	s_xor_b64 s[18:19], s[18:19], s[20:21]
	s_sub_u32 s18, s18, s20
	s_cbranch_execnz .LBB25_6
.LBB25_5:
	v_cvt_f32_u32_e32 v1, s22
	s_sub_i32 s7, 0, s22
	v_rcp_iflag_f32_e32 v1, v1
	s_nop 0
	v_mul_f32_e32 v1, 0x4f7ffffe, v1
	v_cvt_u32_f32_e32 v1, v1
	s_waitcnt lgkmcnt(0)
	v_readfirstlane_b32 s15, v1
	s_mul_i32 s7, s7, s15
	s_mul_hi_u32 s7, s15, s7
	s_add_i32 s15, s15, s7
	s_mul_hi_u32 s7, s5, s15
	s_mul_i32 s16, s7, s22
	s_sub_i32 s5, s5, s16
	s_add_i32 s15, s7, 1
	s_sub_i32 s16, s5, s22
	s_cmp_ge_u32 s5, s22
	s_cselect_b32 s7, s15, s7
	s_cselect_b32 s5, s16, s5
	s_add_i32 s15, s7, 1
	s_cmp_ge_u32 s5, s22
	s_cselect_b32 s18, s15, s7
.LBB25_6:
	s_cmp_eq_u32 s6, s18
	s_waitcnt lgkmcnt(0)
	s_mul_hi_u32 s5, s6, s12
	s_cselect_b64 s[16:17], -1, 0
	s_add_i32 s5, s5, s6
	s_lshr_b32 s7, s5, s13
	s_mul_i32 s5, s7, s14
	s_cmp_eq_u32 s5, s6
	s_mul_hi_u32 s5, s18, s12
	s_cselect_b64 s[20:21], -1, 0
	s_add_i32 s5, s5, s18
	s_lshr_b32 s5, s5, s13
	s_cmp_eq_u32 s7, s5
	s_mul_i32 s5, s5, s14
	s_cselect_b64 s[24:25], -1, 0
	s_cmp_lg_u32 s5, s18
	s_cselect_b64 s[18:19], -1, 0
	s_and_b64 s[18:19], s[24:25], s[18:19]
	s_or_b64 s[16:17], s[16:17], s[20:21]
	s_or_b64 s[16:17], s[16:17], s[18:19]
	s_and_b64 vcc, exec, s[16:17]
	s_cbranch_vccnz .LBB25_23
; %bb.7:
	s_load_dwordx8 s[24:31], s[0:1], 0x20
	s_load_dword s5, s[0:1], 0x40
	s_waitcnt lgkmcnt(0)
	s_mul_hi_u32 s15, s6, s24
	s_add_i32 s15, s15, s6
	s_lshr_b32 s20, s15, s25
	s_mul_i32 s15, s20, s26
	s_sub_i32 s15, s6, s15
	s_mul_hi_u32 s16, s15, s27
	s_add_i32 s16, s15, s16
	s_lshr_b32 s21, s16, s28
	s_mul_i32 s16, s21, s29
	s_sub_i32 s15, s15, s16
	;; [unrolled: 5-line block ×3, first 2 shown]
	s_mul_hi_u32 s15, s5, s12
	s_add_i32 s5, s5, s15
	s_lshr_b32 s23, s5, s13
	s_add_i32 s23, s23, s3
	s_cmp_lt_i32 s23, s8
	s_cselect_b64 s[16:17], -1, 0
	s_add_i32 s24, s24, s4
	s_cmp_lt_i32 s24, s10
	s_cselect_b64 s[18:19], -1, 0
	s_and_b64 s[16:17], s[16:17], s[18:19]
	s_andn2_b64 vcc, exec, s[16:17]
	s_cbranch_vccnz .LBB25_23
; %bb.8:
	s_load_dwordx4 s[16:19], s[0:1], 0x0
	s_mov_b32 s0, 0
	s_add_i32 s15, s3, s4
	s_lshl_b32 s4, s22, 2
	s_mov_b32 s5, s0
	s_lshl_b64 s[4:5], s[4:5], 2
	s_waitcnt lgkmcnt(0)
	s_add_u32 s4, s18, s4
	s_mul_i32 s20, s20, s8
	s_addc_u32 s5, s19, s5
	s_mul_i32 s21, s21, s10
	s_add_i32 s1, s23, s20
	s_mul_i32 s1, s1, s9
	s_add_i32 s3, s24, s21
	s_add_i32 s3, s3, s1
	v_lshl_or_b32 v4, s3, 8, v0
	v_mov_b32_e32 v2, s16
	v_mov_b32_e32 v3, s17
	v_ashrrev_i32_e32 v5, 31, v4
	v_lshl_add_u64 v[2:3], v[4:5], 2, v[2:3]
	global_load_dword v5, v[2:3], off
	v_cvt_f32_u32_e32 v1, s22
	s_add_i32 s8, s15, s2
	s_ashr_i32 s9, s8, 31
	s_lshl_b64 s[8:9], s[8:9], 3
	v_rcp_iflag_f32_e32 v1, v1
	s_add_u32 s8, s18, s8
	s_addc_u32 s9, s19, s9
	s_load_dwordx2 s[8:9], s[8:9], 0x0
	v_mul_f32_e32 v1, 0x4f7ffffe, v1
	v_cvt_u32_f32_e32 v1, v1
	s_add_i32 s24, s2, -1
	s_mov_b32 s10, 0x3fb8aa3b
	s_waitcnt lgkmcnt(0)
	v_mov_b32_e32 v4, s9
	v_mov_b32_e32 v9, s8
	s_mov_b32 s20, 0xc2ce8ed0
	s_mov_b32 s21, 0x42b17218
	s_mov_b32 s23, 0xc1a00000
	v_mov_b32_e32 v8, 0x7f800000
	s_mul_hi_i32 s1, s24, s11
	s_cmp_lg_u64 s[0:1], 0
	s_mul_i32 s16, s24, s11
	s_cbranch_scc0 .LBB25_19
.LBB25_9:
	s_add_u32 s2, s22, 0
	s_addc_u32 s3, 0, 0
	s_xor_b64 s[2:3], s[2:3], 0
	v_cvt_f32_u32_e32 v6, s2
	v_cvt_f32_u32_e32 v7, s3
	s_sub_u32 s17, 0, s2
	s_subb_u32 s25, 0, s3
	v_fmac_f32_e32 v6, 0x4f800000, v7
	v_rcp_f32_e32 v6, v6
	s_nop 0
	v_mul_f32_e32 v6, 0x5f7ffffc, v6
	v_mul_f32_e32 v7, 0x2f800000, v6
	v_trunc_f32_e32 v7, v7
	v_fmac_f32_e32 v6, 0xcf800000, v7
	v_cvt_u32_f32_e32 v7, v7
	v_cvt_u32_f32_e32 v6, v6
	v_readfirstlane_b32 s26, v7
	v_readfirstlane_b32 s8, v6
	s_mul_i32 s9, s17, s26
	s_mul_hi_u32 s28, s17, s8
	s_mul_i32 s27, s25, s8
	s_add_i32 s9, s28, s9
	s_mul_i32 s29, s17, s8
	s_add_i32 s9, s9, s27
	s_mul_i32 s28, s8, s9
	s_mul_hi_u32 s30, s8, s29
	s_mul_hi_u32 s27, s8, s9
	s_add_u32 s28, s30, s28
	s_addc_u32 s27, 0, s27
	s_mul_hi_u32 s31, s26, s29
	s_mul_i32 s29, s26, s29
	s_add_u32 s28, s28, s29
	s_mul_hi_u32 s30, s26, s9
	s_addc_u32 s27, s27, s31
	s_addc_u32 s28, s30, 0
	s_mul_i32 s9, s26, s9
	s_add_u32 s9, s27, s9
	s_addc_u32 s27, 0, s28
	s_add_u32 s28, s8, s9
	s_cselect_b64 s[8:9], -1, 0
	s_cmp_lg_u64 s[8:9], 0
	s_addc_u32 s26, s26, s27
	s_mul_i32 s8, s17, s26
	s_mul_hi_u32 s9, s17, s28
	s_add_i32 s8, s9, s8
	s_mul_i32 s25, s25, s28
	s_add_i32 s8, s8, s25
	s_mul_i32 s17, s17, s28
	s_mul_hi_u32 s25, s26, s17
	s_mul_i32 s27, s26, s17
	s_mul_i32 s30, s28, s8
	s_mul_hi_u32 s17, s28, s17
	s_mul_hi_u32 s29, s28, s8
	s_add_u32 s17, s17, s30
	s_addc_u32 s29, 0, s29
	s_add_u32 s17, s17, s27
	s_mul_hi_u32 s9, s26, s8
	s_addc_u32 s17, s29, s25
	s_addc_u32 s9, s9, 0
	s_mul_i32 s8, s26, s8
	s_add_u32 s8, s17, s8
	s_addc_u32 s17, 0, s9
	s_add_u32 s25, s28, s8
	s_cselect_b64 s[8:9], -1, 0
	s_cmp_lg_u64 s[8:9], 0
	s_addc_u32 s17, s26, s17
	s_ashr_i32 s8, s1, 31
	s_add_u32 s26, s16, s8
	s_mov_b32 s9, s8
	s_addc_u32 s27, s1, s8
	s_xor_b64 s[26:27], s[26:27], s[8:9]
	s_mul_i32 s28, s26, s17
	s_mul_hi_u32 s29, s26, s25
	s_mul_hi_u32 s1, s26, s17
	s_add_u32 s28, s29, s28
	s_addc_u32 s1, 0, s1
	s_mul_hi_u32 s30, s27, s25
	s_mul_i32 s25, s27, s25
	s_add_u32 s25, s28, s25
	s_mul_hi_u32 s29, s27, s17
	s_addc_u32 s1, s1, s30
	s_addc_u32 s25, s29, 0
	s_mul_i32 s17, s27, s17
	s_add_u32 s1, s1, s17
	s_addc_u32 s17, 0, s25
	s_mul_i32 s25, s2, s17
	s_mul_hi_u32 s28, s2, s1
	s_add_i32 s25, s28, s25
	s_mul_i32 s28, s3, s1
	s_add_i32 s25, s25, s28
	s_sub_i32 s30, s27, s25
	s_mul_i32 s28, s2, s1
	s_sub_u32 s26, s26, s28
	s_cselect_b64 s[28:29], -1, 0
	s_cmp_lg_u64 s[28:29], 0
	s_subb_u32 s33, s30, s3
	s_sub_u32 s34, s26, s2
	s_cselect_b64 s[30:31], -1, 0
	s_cmp_lg_u64 s[30:31], 0
	s_subb_u32 s30, s33, 0
	s_cmp_ge_u32 s30, s3
	s_cselect_b32 s31, -1, 0
	s_cmp_ge_u32 s34, s2
	s_cselect_b32 s33, -1, 0
	s_cmp_eq_u32 s30, s3
	s_cselect_b32 s30, s33, s31
	s_add_u32 s31, s1, 1
	s_addc_u32 s33, s17, 0
	s_add_u32 s34, s1, 2
	s_addc_u32 s35, s17, 0
	s_cmp_lg_u32 s30, 0
	s_cselect_b32 s30, s34, s31
	s_cselect_b32 s31, s35, s33
	s_cmp_lg_u64 s[28:29], 0
	s_subb_u32 s25, s27, s25
	s_cmp_ge_u32 s25, s3
	s_cselect_b32 s27, -1, 0
	s_cmp_ge_u32 s26, s2
	s_cselect_b32 s2, -1, 0
	s_cmp_eq_u32 s25, s3
	s_cselect_b32 s2, s2, s27
	s_cmp_lg_u32 s2, 0
	s_cselect_b32 s3, s31, s17
	s_cselect_b32 s2, s30, s1
	s_xor_b64 s[8:9], s[8:9], 0
	s_xor_b64 s[2:3], s[2:3], s[8:9]
	s_sub_u32 s8, s2, s8
	s_cbranch_execnz .LBB25_11
.LBB25_10:
	s_sub_i32 s1, 0, s22
	v_readfirstlane_b32 s2, v1
	s_mul_i32 s1, s1, s2
	s_mul_hi_u32 s1, s2, s1
	s_add_i32 s2, s2, s1
	s_mul_hi_u32 s1, s16, s2
	s_mul_i32 s3, s1, s22
	s_sub_i32 s3, s16, s3
	s_add_i32 s2, s1, 1
	s_sub_i32 s8, s3, s22
	s_cmp_ge_u32 s3, s22
	s_cselect_b32 s1, s2, s1
	s_cselect_b32 s3, s8, s3
	s_add_i32 s2, s1, 1
	s_cmp_ge_u32 s3, s22
	s_cselect_b32 s8, s2, s1
.LBB25_11:
	s_cmp_lg_u32 s6, s8
	s_cbranch_scc0 .LBB25_15
; %bb.12:
	s_add_i32 s9, s24, s15
	s_add_i32 s2, s9, s22
	s_mov_b32 s3, s0
	s_lshl_b64 s[2:3], s[2:3], 3
	s_add_u32 s16, s18, s2
	s_mul_hi_u32 s1, s8, s12
	s_addc_u32 s17, s19, s3
	s_add_i32 s1, s1, s8
	s_lshr_b32 s1, s1, s13
	s_mul_i32 s2, s1, s14
	s_cmp_eq_u32 s2, s8
	s_cselect_b64 s[2:3], -1, 0
	s_cmp_lt_u32 s1, s7
	s_cselect_b64 s[26:27], -1, 0
	s_or_b64 s[26:27], s[26:27], s[2:3]
	s_mov_b64 s[2:3], -1
	s_and_b64 vcc, exec, s[26:27]
	s_mov_b32 s1, s24
	s_mov_b32 s25, s6
	s_cbranch_vccnz .LBB25_14
; %bb.13:
	s_add_i32 s1, s24, -1
	s_mov_b64 s[2:3], 0
	s_mov_b32 s25, s8
.LBB25_14:
	v_lshl_or_b32 v6, s9, 8, v0
	v_ashrrev_i32_e32 v7, 31, v6
	v_lshl_add_u64 v[6:7], v[6:7], 2, s[4:5]
	global_load_dword v7, v[6:7], off
	s_load_dwordx2 s[8:9], s[16:17], 0x0
	v_max_f32_e32 v6, v9, v9
	s_waitcnt lgkmcnt(0)
	v_max_f32_e64 v10, s8, s8
	v_max_f32_e32 v10, v6, v10
	v_sub_f32_e32 v11, v9, v10
	v_sub_f32_e32 v13, s8, v10
	v_mul_f32_e32 v6, 0x3fb8aa3b, v11
	v_mul_f32_e32 v12, 0x3fb8aa3b, v13
	v_fma_f32 v14, v11, s10, -v6
	v_rndne_f32_e32 v15, v6
	v_fma_f32 v16, v13, s10, -v12
	v_rndne_f32_e32 v17, v12
	v_fmac_f32_e32 v14, 0x32a5705f, v11
	v_sub_f32_e32 v6, v6, v15
	v_fmac_f32_e32 v16, 0x32a5705f, v13
	v_sub_f32_e32 v12, v12, v17
	v_add_f32_e32 v6, v6, v14
	v_cvt_i32_f32_e32 v15, v15
	v_add_f32_e32 v12, v12, v16
	v_exp_f32_e32 v14, v6
	v_cvt_i32_f32_e32 v17, v17
	v_exp_f32_e32 v12, v12
	v_cmp_ngt_f32_e32 vcc, s20, v11
	v_ldexp_f32 v14, v14, v15
	v_mov_b32_e32 v6, s9
	v_ldexp_f32 v12, v12, v17
	v_cndmask_b32_e32 v14, 0, v14, vcc
	v_cmp_ngt_f32_e32 vcc, s20, v13
	s_nop 1
	v_cndmask_b32_e32 v12, 0, v12, vcc
	v_cmp_nlt_f32_e32 vcc, s21, v11
	s_nop 1
	v_cndmask_b32_e32 v14, v8, v14, vcc
	v_cmp_nlt_f32_e32 vcc, s21, v13
	s_nop 1
	v_cndmask_b32_e32 v15, v8, v12, vcc
	v_cmp_le_f32_e32 vcc, s23, v11
	s_nop 1
	v_cndmask_b32_e32 v12, 0, v14, vcc
	v_cmp_le_f32_e32 vcc, s23, v13
	s_nop 1
	v_cndmask_b32_e32 v14, 0, v15, vcc
	s_waitcnt vmcnt(0)
	v_pk_mul_f32 v[6:7], v[6:7], v[14:15] op_sel_hi:[1,0]
	s_nop 0
	v_pk_fma_f32 v[6:7], v[4:5], v[12:13], v[6:7] op_sel_hi:[1,0,1]
	s_cbranch_execz .LBB25_16
	s_branch .LBB25_17
.LBB25_15:
                                        ; implicit-def: $vgpr6_vgpr7
                                        ; implicit-def: $sgpr2_sgpr3
                                        ; implicit-def: $vgpr10
                                        ; implicit-def: $sgpr1
                                        ; implicit-def: $sgpr25
.LBB25_16:
	s_add_i32 s1, s24, -1
	s_mov_b64 s[2:3], 0
	s_mov_b32 s25, s6
	v_mov_b32_e32 v10, v9
	s_waitcnt vmcnt(0)
	v_mov_b64_e32 v[6:7], v[4:5]
.LBB25_17:
	s_andn2_b64 vcc, exec, s[2:3]
	s_cbranch_vccz .LBB25_22
; %bb.18:
	s_mov_b32 s6, s25
	s_mov_b32 s24, s1
	v_mov_b32_e32 v9, v10
	s_waitcnt vmcnt(0)
	v_mov_b64_e32 v[4:5], v[6:7]
	s_mul_hi_i32 s1, s24, s11
	s_cmp_lg_u64 s[0:1], 0
	s_mul_i32 s16, s24, s11
	s_cbranch_scc1 .LBB25_9
.LBB25_19:
                                        ; implicit-def: $sgpr8_sgpr9
	s_branch .LBB25_10
.LBB25_20:
                                        ; implicit-def: $sgpr6_sgpr7
	s_load_dwordx4 s[12:15], s[0:1], 0x44
	s_branch .LBB25_2
.LBB25_21:
                                        ; implicit-def: $sgpr18_sgpr19
	s_branch .LBB25_5
.LBB25_22:
	v_div_scale_f32 v0, s[0:1], v6, v6, v7
	v_rcp_f32_e32 v1, v0
	v_div_scale_f32 v4, vcc, v7, v6, v7
	s_waitcnt vmcnt(0)
	v_fma_f32 v5, -v0, v1, 1.0
	v_fmac_f32_e32 v1, v5, v1
	v_mul_f32_e32 v5, v4, v1
	v_fma_f32 v8, -v0, v5, v4
	v_fmac_f32_e32 v5, v8, v1
	v_fma_f32 v0, -v0, v5, v4
	v_div_fmas_f32 v0, v0, v1, v5
	v_div_fixup_f32 v0, v0, v6, v7
	global_store_dword v[2:3], v0, off
.LBB25_23:
	s_endpgm
	.section	.rodata,"a",@progbits
	.p2align	6, 0x0
	.amdhsa_kernel _ZL33flash_attn_stream_k_fixup_generalILi256ELi1ELi1EEvPfPK15HIP_vector_typeIfLj2EEiiiiS1_IjLj3EES5_S5_S5_
		.amdhsa_group_segment_fixed_size 0
		.amdhsa_private_segment_fixed_size 0
		.amdhsa_kernarg_size 336
		.amdhsa_user_sgpr_count 2
		.amdhsa_user_sgpr_dispatch_ptr 0
		.amdhsa_user_sgpr_queue_ptr 0
		.amdhsa_user_sgpr_kernarg_segment_ptr 1
		.amdhsa_user_sgpr_dispatch_id 0
		.amdhsa_user_sgpr_kernarg_preload_length 0
		.amdhsa_user_sgpr_kernarg_preload_offset 0
		.amdhsa_user_sgpr_private_segment_size 0
		.amdhsa_uses_dynamic_stack 0
		.amdhsa_enable_private_segment 0
		.amdhsa_system_sgpr_workgroup_id_x 1
		.amdhsa_system_sgpr_workgroup_id_y 1
		.amdhsa_system_sgpr_workgroup_id_z 1
		.amdhsa_system_sgpr_workgroup_info 0
		.amdhsa_system_vgpr_workitem_id 0
		.amdhsa_next_free_vgpr 18
		.amdhsa_next_free_sgpr 36
		.amdhsa_accum_offset 20
		.amdhsa_reserve_vcc 1
		.amdhsa_float_round_mode_32 0
		.amdhsa_float_round_mode_16_64 0
		.amdhsa_float_denorm_mode_32 3
		.amdhsa_float_denorm_mode_16_64 3
		.amdhsa_dx10_clamp 1
		.amdhsa_ieee_mode 1
		.amdhsa_fp16_overflow 0
		.amdhsa_tg_split 0
		.amdhsa_exception_fp_ieee_invalid_op 0
		.amdhsa_exception_fp_denorm_src 0
		.amdhsa_exception_fp_ieee_div_zero 0
		.amdhsa_exception_fp_ieee_overflow 0
		.amdhsa_exception_fp_ieee_underflow 0
		.amdhsa_exception_fp_ieee_inexact 0
		.amdhsa_exception_int_div_zero 0
	.end_amdhsa_kernel
	.section	.text._ZL33flash_attn_stream_k_fixup_generalILi256ELi1ELi1EEvPfPK15HIP_vector_typeIfLj2EEiiiiS1_IjLj3EES5_S5_S5_,"axG",@progbits,_ZL33flash_attn_stream_k_fixup_generalILi256ELi1ELi1EEvPfPK15HIP_vector_typeIfLj2EEiiiiS1_IjLj3EES5_S5_S5_,comdat
.Lfunc_end25:
	.size	_ZL33flash_attn_stream_k_fixup_generalILi256ELi1ELi1EEvPfPK15HIP_vector_typeIfLj2EEiiiiS1_IjLj3EES5_S5_S5_, .Lfunc_end25-_ZL33flash_attn_stream_k_fixup_generalILi256ELi1ELi1EEvPfPK15HIP_vector_typeIfLj2EEiiiiS1_IjLj3EES5_S5_S5_
                                        ; -- End function
	.set _ZL33flash_attn_stream_k_fixup_generalILi256ELi1ELi1EEvPfPK15HIP_vector_typeIfLj2EEiiiiS1_IjLj3EES5_S5_S5_.num_vgpr, 18
	.set _ZL33flash_attn_stream_k_fixup_generalILi256ELi1ELi1EEvPfPK15HIP_vector_typeIfLj2EEiiiiS1_IjLj3EES5_S5_S5_.num_agpr, 0
	.set _ZL33flash_attn_stream_k_fixup_generalILi256ELi1ELi1EEvPfPK15HIP_vector_typeIfLj2EEiiiiS1_IjLj3EES5_S5_S5_.numbered_sgpr, 36
	.set _ZL33flash_attn_stream_k_fixup_generalILi256ELi1ELi1EEvPfPK15HIP_vector_typeIfLj2EEiiiiS1_IjLj3EES5_S5_S5_.num_named_barrier, 0
	.set _ZL33flash_attn_stream_k_fixup_generalILi256ELi1ELi1EEvPfPK15HIP_vector_typeIfLj2EEiiiiS1_IjLj3EES5_S5_S5_.private_seg_size, 0
	.set _ZL33flash_attn_stream_k_fixup_generalILi256ELi1ELi1EEvPfPK15HIP_vector_typeIfLj2EEiiiiS1_IjLj3EES5_S5_S5_.uses_vcc, 1
	.set _ZL33flash_attn_stream_k_fixup_generalILi256ELi1ELi1EEvPfPK15HIP_vector_typeIfLj2EEiiiiS1_IjLj3EES5_S5_S5_.uses_flat_scratch, 0
	.set _ZL33flash_attn_stream_k_fixup_generalILi256ELi1ELi1EEvPfPK15HIP_vector_typeIfLj2EEiiiiS1_IjLj3EES5_S5_S5_.has_dyn_sized_stack, 0
	.set _ZL33flash_attn_stream_k_fixup_generalILi256ELi1ELi1EEvPfPK15HIP_vector_typeIfLj2EEiiiiS1_IjLj3EES5_S5_S5_.has_recursion, 0
	.set _ZL33flash_attn_stream_k_fixup_generalILi256ELi1ELi1EEvPfPK15HIP_vector_typeIfLj2EEiiiiS1_IjLj3EES5_S5_S5_.has_indirect_call, 0
	.section	.AMDGPU.csdata,"",@progbits
; Kernel info:
; codeLenInByte = 2896
; TotalNumSgprs: 42
; NumVgprs: 18
; NumAgprs: 0
; TotalNumVgprs: 18
; ScratchSize: 0
; MemoryBound: 0
; FloatMode: 240
; IeeeMode: 1
; LDSByteSize: 0 bytes/workgroup (compile time only)
; SGPRBlocks: 5
; VGPRBlocks: 2
; NumSGPRsForWavesPerEU: 42
; NumVGPRsForWavesPerEU: 18
; AccumOffset: 20
; Occupancy: 8
; WaveLimiterHint : 0
; COMPUTE_PGM_RSRC2:SCRATCH_EN: 0
; COMPUTE_PGM_RSRC2:USER_SGPR: 2
; COMPUTE_PGM_RSRC2:TRAP_HANDLER: 0
; COMPUTE_PGM_RSRC2:TGID_X_EN: 1
; COMPUTE_PGM_RSRC2:TGID_Y_EN: 1
; COMPUTE_PGM_RSRC2:TGID_Z_EN: 1
; COMPUTE_PGM_RSRC2:TIDIG_COMP_CNT: 0
; COMPUTE_PGM_RSRC3_GFX90A:ACCUM_OFFSET: 4
; COMPUTE_PGM_RSRC3_GFX90A:TG_SPLIT: 0
	.section	.text._ZL26flash_attn_combine_resultsILi256EEvPKfPK15HIP_vector_typeIfLj2EEPfi,"axG",@progbits,_ZL26flash_attn_combine_resultsILi256EEvPKfPK15HIP_vector_typeIfLj2EEPfi,comdat
	.globl	_ZL26flash_attn_combine_resultsILi256EEvPKfPK15HIP_vector_typeIfLj2EEPfi ; -- Begin function _ZL26flash_attn_combine_resultsILi256EEvPKfPK15HIP_vector_typeIfLj2EEPfi
	.p2align	8
	.type	_ZL26flash_attn_combine_resultsILi256EEvPKfPK15HIP_vector_typeIfLj2EEPfi,@function
_ZL26flash_attn_combine_resultsILi256EEvPKfPK15HIP_vector_typeIfLj2EEPfi: ; @_ZL26flash_attn_combine_resultsILi256EEvPKfPK15HIP_vector_typeIfLj2EEPfi
; %bb.0:
	s_load_dwordx2 s[6:7], s[0:1], 0x20
	s_load_dword s19, s[0:1], 0x18
	s_load_dwordx4 s[8:11], s[0:1], 0x0
	s_load_dwordx2 s[14:15], s[0:1], 0x10
	s_waitcnt lgkmcnt(0)
	s_mul_i32 s0, s6, s4
	s_add_i32 s0, s0, s2
	s_mul_i32 s18, s0, s7
	s_add_i32 s18, s18, s3
	s_lshl_b32 s20, s19, 1
	s_mul_i32 s2, s18, s19
	v_cmp_gt_i32_e32 vcc, s20, v0
	s_and_saveexec_b64 s[0:1], vcc
	s_cbranch_execz .LBB26_13
; %bb.1:
	v_xad_u32 v1, v0, -1, s20
	s_movk_i32 s4, 0xff
	s_ashr_i32 s3, s2, 31
	v_cmp_lt_u32_e32 vcc, s4, v1
	s_mov_b64 s[6:7], -1
	v_mov_b32_e32 v2, v0
	s_and_saveexec_b64 s[4:5], vcc
	s_cbranch_execz .LBB26_10
; %bb.2:
	v_lshrrev_b32_e32 v6, 8, v1
	s_lshl_b64 s[6:7], s[2:3], 3
	v_add_u32_e32 v2, -1, v6
	s_add_u32 s6, s10, s6
	v_or_b32_e32 v1, 0x100, v0
	v_lshrrev_b32_e32 v3, 1, v2
	s_addc_u32 s7, s11, s7
	s_mov_b32 s21, 0
	v_add_u32_e32 v7, 1, v3
	v_cmp_lt_u32_e32 vcc, 13, v2
	v_mov_b32_e32 v4, 0
	v_mov_b64_e32 v[2:3], v[0:1]
	s_and_saveexec_b64 s[12:13], vcc
	s_cbranch_execz .LBB26_6
; %bb.3:
	v_and_b32_e32 v8, -8, v7
	v_lshl_add_u32 v9, v0, 2, 0
	s_mov_b64 s[16:17], 0
	v_mov_b32_e32 v5, 0
	v_mov_b64_e32 v[2:3], v[0:1]
.LBB26_4:                               ; =>This Inner Loop Header: Depth=1
	v_mov_b32_e32 v4, v2
	v_lshl_add_u64 v[24:25], v[4:5], 2, s[6:7]
	v_mov_b32_e32 v4, v3
	v_add_u32_e32 v10, 0x200, v3
	v_mov_b32_e32 v11, v5
	v_lshl_add_u64 v[26:27], v[4:5], 2, s[6:7]
	v_add_u32_e32 v4, 0x200, v2
	v_lshl_add_u64 v[10:11], v[10:11], 2, s[6:7]
	global_load_dword v1, v[24:25], off
	v_lshl_add_u64 v[24:25], v[4:5], 2, s[6:7]
	v_add_u32_e32 v4, 0x400, v2
	global_load_dword v28, v[26:27], off
	global_load_dword v29, v[24:25], off
	;; [unrolled: 1-line block ×3, first 2 shown]
	v_lshl_add_u64 v[10:11], v[4:5], 2, s[6:7]
	v_add_u32_e32 v4, 0x600, v2
	v_add_u32_e32 v12, 0x400, v3
	v_mov_b32_e32 v13, v5
	v_add_u32_e32 v14, 0x600, v3
	v_mov_b32_e32 v15, v5
	v_lshl_add_u64 v[24:25], v[4:5], 2, s[6:7]
	v_add_u32_e32 v4, 0x800, v2
	v_lshl_add_u64 v[12:13], v[12:13], 2, s[6:7]
	v_lshl_add_u64 v[14:15], v[14:15], 2, s[6:7]
	global_load_dword v26, v[10:11], off
	global_load_dword v27, v[12:13], off
	;; [unrolled: 1-line block ×4, first 2 shown]
	v_lshl_add_u64 v[10:11], v[4:5], 2, s[6:7]
	v_add_u32_e32 v4, 0xa00, v2
	v_add_u32_e32 v16, 0x800, v3
	v_mov_b32_e32 v17, v5
	v_add_u32_e32 v18, 0xa00, v3
	v_mov_b32_e32 v19, v5
	v_lshl_add_u64 v[12:13], v[4:5], 2, s[6:7]
	v_add_u32_e32 v4, 0xc00, v2
	v_add_u32_e32 v20, 0xc00, v3
	v_mov_b32_e32 v21, v5
	v_add_u32_e32 v22, 0xe00, v3
	v_mov_b32_e32 v23, v5
	v_lshl_add_u64 v[16:17], v[16:17], 2, s[6:7]
	v_lshl_add_u64 v[18:19], v[18:19], 2, s[6:7]
	global_load_dword v14, v[10:11], off
	global_load_dword v15, v[16:17], off
	;; [unrolled: 1-line block ×4, first 2 shown]
	v_lshl_add_u64 v[10:11], v[4:5], 2, s[6:7]
	v_add_u32_e32 v4, 0xe00, v2
	v_lshl_add_u64 v[20:21], v[20:21], 2, s[6:7]
	v_lshl_add_u64 v[22:23], v[22:23], 2, s[6:7]
	;; [unrolled: 1-line block ×3, first 2 shown]
	global_load_dword v16, v[10:11], off
	global_load_dword v17, v[20:21], off
	;; [unrolled: 1-line block ×4, first 2 shown]
	v_add_u32_e32 v8, -8, v8
	s_add_i32 s21, s21, 16
	v_cmp_eq_u32_e32 vcc, 0, v8
	v_add_u32_e32 v3, 0x1000, v3
	v_mov_b32_e32 v4, s21
	s_or_b64 s[16:17], vcc, s[16:17]
	v_add_u32_e32 v2, 0x1000, v2
	s_waitcnt vmcnt(14)
	ds_write2st64_b32 v9, v1, v28 offset1:4
	s_waitcnt vmcnt(12)
	ds_write2st64_b32 v9, v29, v30 offset0:8 offset1:12
	s_waitcnt vmcnt(10)
	ds_write2st64_b32 v9, v26, v27 offset0:16 offset1:20
	;; [unrolled: 2-line block ×7, first 2 shown]
	v_add_u32_e32 v9, 0x4000, v9
	s_andn2_b64 exec, exec, s[16:17]
	s_cbranch_execnz .LBB26_4
; %bb.5:
	s_or_b64 exec, exec, s[16:17]
.LBB26_6:
	s_or_b64 exec, exec, s[12:13]
	v_and_b32_e32 v1, 7, v7
	v_cmp_ne_u32_e32 vcc, 0, v1
	s_and_saveexec_b64 s[12:13], vcc
	s_cbranch_execz .LBB26_9
; %bb.7:
	v_lshlrev_b32_e32 v5, 2, v0
	v_lshl_or_b32 v4, v4, 10, v5
	v_add_u32_e32 v7, 0, v4
	s_mov_b64 s[16:17], 0
	v_mov_b32_e32 v5, 0
.LBB26_8:                               ; =>This Inner Loop Header: Depth=1
	v_mov_b32_e32 v4, v2
	v_lshl_add_u64 v[8:9], v[4:5], 2, s[6:7]
	v_mov_b32_e32 v4, v3
	v_lshl_add_u64 v[10:11], v[4:5], 2, s[6:7]
	global_load_dword v4, v[8:9], off
	global_load_dword v12, v[10:11], off
	v_add_u32_e32 v1, -1, v1
	v_cmp_eq_u32_e32 vcc, 0, v1
	v_add_u32_e32 v2, 0x200, v2
	v_add_u32_e32 v3, 0x200, v3
	s_or_b64 s[16:17], vcc, s[16:17]
	s_waitcnt vmcnt(0)
	ds_write2st64_b32 v7, v4, v12 offset1:4
	v_add_u32_e32 v7, 0x800, v7
	s_andn2_b64 exec, exec, s[16:17]
	s_cbranch_execnz .LBB26_8
.LBB26_9:
	s_or_b64 exec, exec, s[12:13]
	v_add_u32_e32 v1, 1, v6
	v_and_b32_e32 v3, 0x1fffffe, v1
	v_cmp_ne_u32_e32 vcc, v1, v3
	v_lshl_or_b32 v2, v3, 8, v0
	s_orn2_b64 s[6:7], vcc, exec
.LBB26_10:
	s_or_b64 exec, exec, s[4:5]
	s_and_b64 exec, exec, s[6:7]
	s_cbranch_execz .LBB26_13
; %bb.11:
	s_lshl_b64 s[4:5], s[2:3], 3
	s_add_u32 s4, s10, s4
	v_mov_b32_e32 v3, 0
	s_addc_u32 s5, s11, s5
	v_lshl_add_u64 v[4:5], v[2:3], 2, s[4:5]
	v_lshl_add_u32 v1, v2, 2, 0
	s_mov_b64 s[4:5], 0
	s_mov_b64 s[6:7], 0x400
.LBB26_12:                              ; =>This Inner Loop Header: Depth=1
	global_load_dword v3, v[4:5], off
	v_add_u32_e32 v2, 0x100, v2
	v_cmp_le_i32_e32 vcc, s20, v2
	v_lshl_add_u64 v[4:5], v[4:5], 0, s[6:7]
	s_or_b64 s[4:5], vcc, s[4:5]
	s_waitcnt vmcnt(0)
	ds_write_b32 v1, v3
	v_add_u32_e32 v1, 0x400, v1
	s_andn2_b64 exec, exec, s[4:5]
	s_cbranch_execnz .LBB26_12
.LBB26_13:
	s_or_b64 exec, exec, s[0:1]
	v_mov_b32_e32 v1, 0
	s_waitcnt lgkmcnt(0)
	s_barrier
	ds_read_b32 v1, v1
	s_cmp_lt_i32 s19, 2
	s_cbranch_scc1 .LBB26_21
; %bb.14:
	s_cmp_eq_u32 s19, 2
	s_cbranch_scc1 .LBB26_18
; %bb.15:
	s_add_i32 s3, s19, -1
	s_and_b32 s4, s3, -2
	s_add_i32 s6, 0, 8
	s_mov_b32 s5, 2
	s_waitcnt lgkmcnt(0)
	v_mov_b32_e32 v4, v1
.LBB26_16:                              ; =>This Inner Loop Header: Depth=1
	v_mov_b32_e32 v2, v1
	v_mov_b32_e32 v1, s6
	;; [unrolled: 1-line block ×3, first 2 shown]
	ds_read2_b32 v[4:5], v1 offset1:2
	s_cmp_lg_u32 s4, s5
	s_cselect_b64 s[10:11], -1, 0
	v_max_f32_e32 v1, v3, v3
	v_max_f32_e32 v6, v2, v2
	s_waitcnt lgkmcnt(0)
	v_cmp_u_f32_e32 vcc, v5, v5
	v_max_f32_e32 v7, v5, v5
	v_max_f32_e32 v8, v4, v4
	v_cndmask_b32_e64 v5, 0, 1, vcc
	v_cmp_u_f32_e32 vcc, v4, v4
	v_readfirstlane_b32 s0, v5
	s_lshl_b32 s0, s0, 1
	v_cndmask_b32_e64 v9, 0, 1, vcc
	v_max_f32_e32 v4, v1, v7
	v_readfirstlane_b32 s1, v9
	s_or_b32 s0, s1, s0
	s_and_b32 s7, s0, 3
	s_cmp_lg_u32 s7, 0
	s_cselect_b64 s[0:1], -1, 0
	s_cmp_eq_u32 s7, 0
	s_cselect_b64 s[12:13], -1, 0
	s_and_b64 s[10:11], s[12:13], s[10:11]
	v_max_f32_e32 v1, v6, v8
	s_add_i32 s5, s5, 2
	s_add_i32 s6, s6, 16
	s_and_b64 vcc, exec, s[10:11]
	s_cbranch_vccnz .LBB26_16
; %bb.17:
	s_add_i32 s5, s5, -4
	s_and_b64 s[6:7], s[0:1], exec
	s_cselect_b32 s5, s5, s3
	s_or_b32 s5, s5, 1
	v_cndmask_b32_e64 v1, v1, v2, s[0:1]
	v_cndmask_b32_e64 v2, v4, v3, s[0:1]
	s_cmp_lg_u32 s3, s4
	v_max_f32_e32 v2, v2, v2
	v_max_f32_e32 v1, v1, v1
	s_cselect_b64 s[6:7], -1, 0
	v_max_f32_e32 v1, v1, v2
	s_or_b64 s[0:1], s[6:7], s[0:1]
	s_and_b64 vcc, exec, s[0:1]
	s_cbranch_vccnz .LBB26_19
	s_branch .LBB26_21
.LBB26_18:
	s_mov_b32 s5, 1
	s_cbranch_execz .LBB26_21
.LBB26_19:
	s_lshl_b32 s1, s5, 3
	s_sub_i32 s0, s19, s5
	s_add_i32 s1, s1, 0
.LBB26_20:                              ; =>This Inner Loop Header: Depth=1
	v_mov_b32_e32 v2, s1
	ds_read_b32 v2, v2
	s_waitcnt lgkmcnt(1)
	v_max_f32_e32 v1, v1, v1
	s_add_i32 s0, s0, -1
	s_add_i32 s1, s1, 8
	s_cmp_eq_u32 s0, 0
	s_waitcnt lgkmcnt(0)
	v_max_f32_e32 v2, v2, v2
	v_max_f32_e32 v1, v1, v2
	s_cbranch_scc0 .LBB26_20
.LBB26_21:
	s_cmp_lt_i32 s19, 1
	s_cbranch_scc1 .LBB26_26
; %bb.22:
	s_lshl_b32 s0, s2, 8
	s_ashr_i32 s1, s0, 31
	s_lshl_b64 s[0:1], s[0:1], 2
	s_add_u32 s16, s8, s0
	s_addc_u32 s17, s9, s1
	s_cmp_lt_u32 s19, 8
	s_cbranch_scc1 .LBB26_27
; %bb.23:
	v_mov_b32_e32 v7, 0
	s_and_b32 s20, s19, 0x7ffffff8
	v_or_b32_e32 v4, 0x700, v0
	s_mov_b32 s21, 0
	s_mov_b32 s22, 0x3fb8aa3b
	;; [unrolled: 1-line block ×4, first 2 shown]
	v_mov_b32_e32 v8, 0x7f800000
	s_mov_b32 s25, 0
	v_mov_b32_e32 v2, v7
	v_mov_b32_e32 v3, v7
.LBB26_24:                              ; =>This Inner Loop Header: Depth=1
	v_add_u32_e32 v6, 0xfffff900, v4
	v_lshl_add_u64 v[26:27], v[6:7], 2, s[16:17]
	v_add_u32_e32 v6, 0xfffffa00, v4
	v_mov_b32_e32 v9, s21
	v_lshl_add_u64 v[30:31], v[6:7], 2, s[16:17]
	v_add_u32_e32 v6, 0xfffffb00, v4
	ds_read2_b64 v[10:13], v9 offset1:1
	ds_read2_b64 v[14:17], v9 offset0:2 offset1:3
	ds_read2_b64 v[18:21], v9 offset0:4 offset1:5
	;; [unrolled: 1-line block ×3, first 2 shown]
	global_load_dword v33, v[26:27], off
	global_load_dword v35, v[30:31], off
	v_lshl_add_u64 v[26:27], v[6:7], 2, s[16:17]
	v_add_u32_e32 v6, 0xfffffc00, v4
	v_lshl_add_u64 v[30:31], v[6:7], 2, s[16:17]
	v_add_u32_e32 v6, 0xfffffd00, v4
	global_load_dword v37, v[26:27], off
	global_load_dword v39, v[30:31], off
	v_lshl_add_u64 v[26:27], v[6:7], 2, s[16:17]
	v_add_u32_e32 v6, 0xfffffe00, v4
	s_waitcnt lgkmcnt(3)
	v_mov_b32_e32 v32, v11
	v_sub_f32_e32 v9, v12, v1
	v_mov_b32_e32 v34, v13
	global_load_dword v11, v[26:27], off
	v_lshl_add_u64 v[12:13], v[6:7], 2, s[16:17]
	s_waitcnt lgkmcnt(2)
	v_mov_b32_e32 v36, v15
	v_add_u32_e32 v6, 0xffffff00, v4
	global_load_dword v15, v[12:13], off
	v_mov_b32_e32 v5, v7
	v_lshl_add_u64 v[12:13], v[6:7], 2, s[16:17]
	v_lshl_add_u64 v[28:29], v[4:5], 2, s[16:17]
	v_sub_f32_e32 v5, v10, v1
	v_mov_b32_e32 v38, v17
	s_waitcnt lgkmcnt(1)
	v_mov_b32_e32 v10, v19
	global_load_dword v17, v[12:13], off
	global_load_dword v19, v[28:29], off
	v_sub_f32_e32 v30, v14, v1
	v_sub_f32_e32 v31, v16, v1
	;; [unrolled: 1-line block ×3, first 2 shown]
	v_mov_b32_e32 v14, v21
	s_waitcnt lgkmcnt(0)
	v_sub_f32_e32 v21, v22, v1
	v_mov_b32_e32 v16, v23
	v_sub_f32_e32 v22, v24, v1
	v_mul_f32_e32 v23, 0x3fb8aa3b, v5
	v_mov_b32_e32 v18, v25
	v_mul_f32_e32 v24, 0x3fb8aa3b, v9
	v_mul_f32_e32 v25, 0x3fb8aa3b, v30
	;; [unrolled: 1-line block ×5, first 2 shown]
	v_fma_f32 v43, v5, s22, -v23
	v_rndne_f32_e32 v44, v23
	v_sub_f32_e32 v20, v20, v1
	v_fma_f32 v45, v9, s22, -v24
	v_rndne_f32_e32 v46, v24
	v_fma_f32 v47, v30, s22, -v25
	v_rndne_f32_e32 v48, v25
	;; [unrolled: 2-line block ×5, first 2 shown]
	v_fmac_f32_e32 v43, 0x32a5705f, v5
	v_sub_f32_e32 v12, v23, v44
	v_mul_f32_e32 v26, 0x3fb8aa3b, v31
	v_mul_f32_e32 v41, 0x3fb8aa3b, v20
	v_fmac_f32_e32 v45, 0x32a5705f, v9
	v_sub_f32_e32 v23, v24, v46
	v_fmac_f32_e32 v47, 0x32a5705f, v30
	v_sub_f32_e32 v25, v25, v48
	;; [unrolled: 2-line block ×5, first 2 shown]
	v_add_f32_e32 v12, v12, v43
	v_fma_f32 v49, v31, s22, -v26
	v_rndne_f32_e32 v50, v26
	v_fma_f32 v53, v20, s22, -v41
	v_rndne_f32_e32 v54, v41
	v_cvt_i32_f32_e32 v13, v44
	v_add_f32_e32 v23, v23, v45
	v_add_f32_e32 v25, v25, v47
	;; [unrolled: 1-line block ×5, first 2 shown]
	v_exp_f32_e32 v12, v12
	v_cvt_i32_f32_e32 v24, v46
	v_cvt_i32_f32_e32 v28, v48
	v_fmac_f32_e32 v49, 0x32a5705f, v31
	v_sub_f32_e32 v26, v26, v50
	v_cvt_i32_f32_e32 v29, v50
	v_cvt_i32_f32_e32 v44, v52
	v_fmac_f32_e32 v53, 0x32a5705f, v20
	v_sub_f32_e32 v41, v41, v54
	v_cvt_i32_f32_e32 v48, v56
	v_cvt_i32_f32_e32 v50, v58
	v_exp_f32_e32 v23, v23
	v_exp_f32_e32 v25, v25
	;; [unrolled: 1-line block ×5, first 2 shown]
	v_add_f32_e32 v26, v26, v49
	v_add_f32_e32 v41, v41, v53
	v_cvt_i32_f32_e32 v46, v54
	v_exp_f32_e32 v26, v26
	v_exp_f32_e32 v41, v41
	v_ldexp_f32 v12, v12, v13
	v_cmp_ngt_f32_e64 s[12:13], s23, v5
	v_ldexp_f32 v13, v23, v24
	v_cmp_ngt_f32_e32 vcc, s23, v9
	v_ldexp_f32 v23, v25, v28
	v_ldexp_f32 v25, v27, v44
	;; [unrolled: 1-line block ×3, first 2 shown]
	v_cmp_ngt_f32_e64 s[8:9], s23, v21
	v_ldexp_f32 v6, v6, v50
	v_cmp_ngt_f32_e64 s[10:11], s23, v22
	v_cndmask_b32_e64 v12, 0, v12, s[12:13]
	v_cmp_nlt_f32_e64 s[12:13], s24, v5
	v_cmp_ngt_f32_e64 s[0:1], s23, v30
	v_cndmask_b32_e32 v13, 0, v13, vcc
	v_cmp_nlt_f32_e32 vcc, s24, v9
	v_cndmask_b32_e64 v27, 0, v27, s[8:9]
	v_cmp_nlt_f32_e64 s[8:9], s24, v21
	v_cndmask_b32_e64 v21, 0, v6, s[10:11]
	v_cndmask_b32_e64 v6, v8, v12, s[12:13]
	v_ldexp_f32 v24, v26, v29
	v_cmp_ngt_f32_e64 s[2:3], s23, v31
	v_cmp_ngt_f32_e64 s[4:5], s23, v40
	v_ldexp_f32 v26, v41, v46
	v_cmp_ngt_f32_e64 s[6:7], s23, v20
	v_cndmask_b32_e64 v9, 0, v23, s[0:1]
	v_cmp_nlt_f32_e64 s[0:1], s24, v30
	v_cndmask_b32_e32 v12, v8, v13, vcc
	s_waitcnt vmcnt(7)
	v_pk_fma_f32 v[2:3], v[6:7], v[32:33], v[2:3] op_sel_hi:[0,1,1]
	v_cndmask_b32_e64 v23, 0, v24, s[2:3]
	v_cmp_nlt_f32_e64 s[2:3], s24, v31
	v_cndmask_b32_e64 v24, 0, v25, s[4:5]
	v_cndmask_b32_e64 v25, 0, v26, s[6:7]
	v_cmp_nlt_f32_e64 s[6:7], s24, v20
	v_cndmask_b32_e64 v20, v8, v9, s[0:1]
	s_waitcnt vmcnt(6)
	v_pk_fma_f32 v[2:3], v[12:13], v[34:35], v[2:3] op_sel_hi:[0,1,1]
	v_cmp_nlt_f32_e64 s[4:5], s24, v40
	v_cmp_nlt_f32_e64 s[10:11], s24, v22
	v_cndmask_b32_e64 v22, v8, v23, s[2:3]
	s_waitcnt vmcnt(5)
	v_pk_fma_f32 v[2:3], v[20:21], v[36:37], v[2:3] op_sel_hi:[0,1,1]
	v_cndmask_b32_e64 v24, v8, v24, s[4:5]
	s_waitcnt vmcnt(4)
	v_pk_fma_f32 v[2:3], v[22:23], v[38:39], v[2:3] op_sel_hi:[0,1,1]
	;; [unrolled: 3-line block ×4, first 2 shown]
	s_add_i32 s25, s25, 8
	s_add_i32 s21, s21, 64
	v_cndmask_b32_e64 v30, v8, v21, s[10:11]
	s_waitcnt vmcnt(1)
	v_pk_fma_f32 v[2:3], v[28:29], v[16:17], v[2:3] op_sel_hi:[0,1,1]
	s_cmp_eq_u32 s20, s25
	v_add_u32_e32 v4, 0x800, v4
	s_waitcnt vmcnt(0)
	v_pk_fma_f32 v[2:3], v[30:31], v[18:19], v[2:3] op_sel_hi:[0,1,1]
	s_cbranch_scc0 .LBB26_24
; %bb.25:
	s_and_b32 s0, s19, 7
	s_cmp_eq_u32 s0, 0
	s_cbranch_scc0 .LBB26_28
	s_branch .LBB26_30
.LBB26_26:
	s_waitcnt lgkmcnt(0)
	v_mov_b32_e32 v1, 0x7fc00000
	s_branch .LBB26_31
.LBB26_27:
	v_mov_b32_e32 v2, 0
	s_mov_b32 s20, 0
	v_mov_b32_e32 v3, v2
	s_and_b32 s0, s19, 7
	s_cmp_eq_u32 s0, 0
	s_cbranch_scc1 .LBB26_30
.LBB26_28:
	s_lshl_b32 s1, s20, 3
	v_lshl_or_b32 v4, s20, 8, v0
	s_add_i32 s1, s1, 0
	s_mov_b32 s2, 0x3fb8aa3b
	s_mov_b32 s3, 0xc2ce8ed0
	;; [unrolled: 1-line block ×3, first 2 shown]
	v_mov_b32_e32 v6, 0x7f800000
	v_mov_b32_e32 v5, 0
.LBB26_29:                              ; =>This Inner Loop Header: Depth=1
	v_lshl_add_u64 v[8:9], v[4:5], 2, s[16:17]
	global_load_dword v9, v[8:9], off
	v_mov_b32_e32 v7, s1
	ds_read_b64 v[10:11], v7
	s_add_i32 s1, s1, 8
	s_add_i32 s0, s0, -1
	v_add_u32_e32 v4, 0x100, v4
	s_cmp_lg_u32 s0, 0
	s_waitcnt lgkmcnt(0)
	v_sub_f32_e32 v7, v10, v1
	v_mul_f32_e32 v8, 0x3fb8aa3b, v7
	v_fma_f32 v10, v7, s2, -v8
	v_rndne_f32_e32 v12, v8
	v_fmac_f32_e32 v10, 0x32a5705f, v7
	v_sub_f32_e32 v8, v8, v12
	v_add_f32_e32 v8, v8, v10
	v_cvt_i32_f32_e32 v12, v12
	v_exp_f32_e32 v10, v8
	v_cmp_ngt_f32_e32 vcc, s3, v7
	v_mov_b32_e32 v8, v11
	v_ldexp_f32 v10, v10, v12
	v_cndmask_b32_e32 v10, 0, v10, vcc
	v_cmp_nlt_f32_e32 vcc, s4, v7
	s_nop 1
	v_cndmask_b32_e32 v10, v6, v10, vcc
	s_waitcnt vmcnt(0)
	v_pk_fma_f32 v[2:3], v[10:11], v[8:9], v[2:3] op_sel_hi:[0,1,1]
	s_cbranch_scc1 .LBB26_29
.LBB26_30:
	s_waitcnt lgkmcnt(0)
	v_div_scale_f32 v1, s[0:1], v2, v2, v3
	v_rcp_f32_e32 v4, v1
	v_div_scale_f32 v5, vcc, v3, v2, v3
	v_fma_f32 v6, -v1, v4, 1.0
	v_fmac_f32_e32 v4, v6, v4
	v_mul_f32_e32 v6, v5, v4
	v_fma_f32 v7, -v1, v6, v5
	v_fmac_f32_e32 v6, v7, v4
	v_fma_f32 v1, -v1, v6, v5
	v_div_fmas_f32 v1, v1, v4, v6
	v_div_fixup_f32 v1, v1, v2, v3
.LBB26_31:
	s_lshl_b32 s0, s18, 8
	s_ashr_i32 s1, s0, 31
	s_lshl_b64 s[0:1], s[0:1], 2
	s_add_u32 s0, s14, s0
	s_addc_u32 s1, s15, s1
	v_lshlrev_b32_e32 v0, 2, v0
	global_store_dword v0, v1, s[0:1]
	s_endpgm
	.section	.rodata,"a",@progbits
	.p2align	6, 0x0
	.amdhsa_kernel _ZL26flash_attn_combine_resultsILi256EEvPKfPK15HIP_vector_typeIfLj2EEPfi
		.amdhsa_group_segment_fixed_size 0
		.amdhsa_private_segment_fixed_size 0
		.amdhsa_kernarg_size 288
		.amdhsa_user_sgpr_count 2
		.amdhsa_user_sgpr_dispatch_ptr 0
		.amdhsa_user_sgpr_queue_ptr 0
		.amdhsa_user_sgpr_kernarg_segment_ptr 1
		.amdhsa_user_sgpr_dispatch_id 0
		.amdhsa_user_sgpr_kernarg_preload_length 0
		.amdhsa_user_sgpr_kernarg_preload_offset 0
		.amdhsa_user_sgpr_private_segment_size 0
		.amdhsa_uses_dynamic_stack 0
		.amdhsa_enable_private_segment 0
		.amdhsa_system_sgpr_workgroup_id_x 1
		.amdhsa_system_sgpr_workgroup_id_y 1
		.amdhsa_system_sgpr_workgroup_id_z 1
		.amdhsa_system_sgpr_workgroup_info 0
		.amdhsa_system_vgpr_workitem_id 0
		.amdhsa_next_free_vgpr 59
		.amdhsa_next_free_sgpr 26
		.amdhsa_accum_offset 60
		.amdhsa_reserve_vcc 1
		.amdhsa_float_round_mode_32 0
		.amdhsa_float_round_mode_16_64 0
		.amdhsa_float_denorm_mode_32 3
		.amdhsa_float_denorm_mode_16_64 3
		.amdhsa_dx10_clamp 1
		.amdhsa_ieee_mode 1
		.amdhsa_fp16_overflow 0
		.amdhsa_tg_split 0
		.amdhsa_exception_fp_ieee_invalid_op 0
		.amdhsa_exception_fp_denorm_src 0
		.amdhsa_exception_fp_ieee_div_zero 0
		.amdhsa_exception_fp_ieee_overflow 0
		.amdhsa_exception_fp_ieee_underflow 0
		.amdhsa_exception_fp_ieee_inexact 0
		.amdhsa_exception_int_div_zero 0
	.end_amdhsa_kernel
	.section	.text._ZL26flash_attn_combine_resultsILi256EEvPKfPK15HIP_vector_typeIfLj2EEPfi,"axG",@progbits,_ZL26flash_attn_combine_resultsILi256EEvPKfPK15HIP_vector_typeIfLj2EEPfi,comdat
.Lfunc_end26:
	.size	_ZL26flash_attn_combine_resultsILi256EEvPKfPK15HIP_vector_typeIfLj2EEPfi, .Lfunc_end26-_ZL26flash_attn_combine_resultsILi256EEvPKfPK15HIP_vector_typeIfLj2EEPfi
                                        ; -- End function
	.set _ZL26flash_attn_combine_resultsILi256EEvPKfPK15HIP_vector_typeIfLj2EEPfi.num_vgpr, 59
	.set _ZL26flash_attn_combine_resultsILi256EEvPKfPK15HIP_vector_typeIfLj2EEPfi.num_agpr, 0
	.set _ZL26flash_attn_combine_resultsILi256EEvPKfPK15HIP_vector_typeIfLj2EEPfi.numbered_sgpr, 26
	.set _ZL26flash_attn_combine_resultsILi256EEvPKfPK15HIP_vector_typeIfLj2EEPfi.num_named_barrier, 0
	.set _ZL26flash_attn_combine_resultsILi256EEvPKfPK15HIP_vector_typeIfLj2EEPfi.private_seg_size, 0
	.set _ZL26flash_attn_combine_resultsILi256EEvPKfPK15HIP_vector_typeIfLj2EEPfi.uses_vcc, 1
	.set _ZL26flash_attn_combine_resultsILi256EEvPKfPK15HIP_vector_typeIfLj2EEPfi.uses_flat_scratch, 0
	.set _ZL26flash_attn_combine_resultsILi256EEvPKfPK15HIP_vector_typeIfLj2EEPfi.has_dyn_sized_stack, 0
	.set _ZL26flash_attn_combine_resultsILi256EEvPKfPK15HIP_vector_typeIfLj2EEPfi.has_recursion, 0
	.set _ZL26flash_attn_combine_resultsILi256EEvPKfPK15HIP_vector_typeIfLj2EEPfi.has_indirect_call, 0
	.section	.AMDGPU.csdata,"",@progbits
; Kernel info:
; codeLenInByte = 2924
; TotalNumSgprs: 32
; NumVgprs: 59
; NumAgprs: 0
; TotalNumVgprs: 59
; ScratchSize: 0
; MemoryBound: 0
; FloatMode: 240
; IeeeMode: 1
; LDSByteSize: 0 bytes/workgroup (compile time only)
; SGPRBlocks: 3
; VGPRBlocks: 7
; NumSGPRsForWavesPerEU: 32
; NumVGPRsForWavesPerEU: 59
; AccumOffset: 60
; Occupancy: 8
; WaveLimiterHint : 0
; COMPUTE_PGM_RSRC2:SCRATCH_EN: 0
; COMPUTE_PGM_RSRC2:USER_SGPR: 2
; COMPUTE_PGM_RSRC2:TRAP_HANDLER: 0
; COMPUTE_PGM_RSRC2:TGID_X_EN: 1
; COMPUTE_PGM_RSRC2:TGID_Y_EN: 1
; COMPUTE_PGM_RSRC2:TGID_Z_EN: 1
; COMPUTE_PGM_RSRC2:TIDIG_COMP_CNT: 0
; COMPUTE_PGM_RSRC3_GFX90A:ACCUM_OFFSET: 14
; COMPUTE_PGM_RSRC3_GFX90A:TG_SPLIT: 0
	.section	.text._ZL18flash_attn_ext_vecILi256ELi1EL9ggml_type7ELS0_7ELb1EEvPKcS2_S2_S2_S2_PKiPfP15HIP_vector_typeIfLj2EEffffjfiS6_IjLj3EEiiiiiiiiiiiliiliiiiil,"axG",@progbits,_ZL18flash_attn_ext_vecILi256ELi1EL9ggml_type7ELS0_7ELb1EEvPKcS2_S2_S2_S2_PKiPfP15HIP_vector_typeIfLj2EEffffjfiS6_IjLj3EEiiiiiiiiiiiliiliiiiil,comdat
	.globl	_ZL18flash_attn_ext_vecILi256ELi1EL9ggml_type7ELS0_7ELb1EEvPKcS2_S2_S2_S2_PKiPfP15HIP_vector_typeIfLj2EEffffjfiS6_IjLj3EEiiiiiiiiiiiliiliiiiil ; -- Begin function _ZL18flash_attn_ext_vecILi256ELi1EL9ggml_type7ELS0_7ELb1EEvPKcS2_S2_S2_S2_PKiPfP15HIP_vector_typeIfLj2EEffffjfiS6_IjLj3EEiiiiiiiiiiiliiliiiiil
	.p2align	8
	.type	_ZL18flash_attn_ext_vecILi256ELi1EL9ggml_type7ELS0_7ELb1EEvPKcS2_S2_S2_S2_PKiPfP15HIP_vector_typeIfLj2EEffffjfiS6_IjLj3EEiiiiiiiiiiiliiliiiiil,@function
_ZL18flash_attn_ext_vecILi256ELi1EL9ggml_type7ELS0_7ELb1EEvPKcS2_S2_S2_S2_PKiPfP15HIP_vector_typeIfLj2EEffffjfiS6_IjLj3EEiiiiiiiiiiiliiliiiiil: ; @_ZL18flash_attn_ext_vecILi256ELi1EL9ggml_type7ELS0_7ELb1EEvPKcS2_S2_S2_S2_PKiPfP15HIP_vector_typeIfLj2EEffffjfiS6_IjLj3EEiiiiiiiiiiiliiliiiiil
; %bb.0:
	s_load_dwordx2 s[34:35], s[0:1], 0x64
	s_load_dwordx2 s[42:43], s[0:1], 0x80
	;; [unrolled: 1-line block ×3, first 2 shown]
	s_load_dwordx4 s[8:11], s[0:1], 0x40
	s_load_dwordx2 s[44:45], s[0:1], 0x50
	s_waitcnt lgkmcnt(0)
	v_cvt_f32_u32_e32 v1, s35
	s_sub_i32 s5, 0, s35
	v_mov_b32_e32 v133, 1.0
	s_mov_b32 s36, s8
	v_rcp_iflag_f32_e32 v1, v1
	s_mov_b32 s37, s9
	v_mul_f32_e32 v1, 0x4f7ffffe, v1
	v_cvt_u32_f32_e32 v1, v1
	s_nop 0
	v_readfirstlane_b32 s6, v1
	s_mul_i32 s5, s5, s6
	s_mul_hi_u32 s5, s6, s5
	s_add_i32 s6, s6, s5
	s_mul_hi_u32 s5, s4, s6
	s_mul_i32 s6, s5, s35
	s_sub_i32 s6, s4, s6
	s_add_i32 s7, s5, 1
	s_sub_i32 s14, s6, s35
	s_cmp_ge_u32 s6, s35
	s_cselect_b32 s5, s7, s5
	s_cselect_b32 s6, s14, s6
	s_add_i32 s7, s5, 1
	s_cmp_ge_u32 s6, s35
	s_cselect_b32 s33, s7, s5
	s_abs_i32 s5, s43
	v_cvt_f32_u32_e32 v1, s5
	s_mul_i32 s14, s33, s35
	s_sub_i32 s15, 0, s5
	s_sub_i32 s40, s4, s14
	v_rcp_iflag_f32_e32 v1, v1
	s_abs_i32 s7, s35
	s_xor_b32 s6, s35, s43
	s_ashr_i32 s6, s6, 31
	v_mul_f32_e32 v1, 0x4f7ffffe, v1
	v_cvt_u32_f32_e32 v1, v1
	s_nop 0
	v_readfirstlane_b32 s4, v1
	s_mul_i32 s15, s15, s4
	s_mul_hi_u32 s14, s4, s15
	s_add_i32 s4, s4, s14
	s_mul_hi_u32 s4, s7, s4
	s_mul_i32 s14, s4, s5
	s_sub_i32 s7, s7, s14
	s_add_i32 s15, s4, 1
	s_sub_i32 s14, s7, s5
	s_cmp_ge_u32 s7, s5
	s_cselect_b32 s4, s15, s4
	s_cselect_b32 s7, s14, s7
	s_add_i32 s14, s4, 1
	s_cmp_ge_u32 s7, s5
	s_cselect_b32 s4, s14, s4
	s_xor_b32 s4, s4, s6
	s_sub_i32 s38, s4, s6
	s_abs_i32 s48, s38
	s_abs_i32 s12, s12
	v_cvt_f32_u32_e32 v1, s48
	v_cvt_f32_u32_e32 v2, s12
	s_sub_i32 s4, 0, s12
	s_sub_i32 s5, 0, s48
	v_rcp_iflag_f32_e32 v1, v1
	v_rcp_iflag_f32_e32 v2, v2
	s_abs_i32 s49, s40
	s_abs_i32 s43, s33
	v_mul_f32_e32 v1, 0x4f7ffffe, v1
	v_mul_f32_e32 v2, 0x4f7ffffe, v2
	v_cvt_u32_f32_e32 v1, v1
	v_cvt_u32_f32_e32 v2, v2
	v_readfirstlane_b32 s14, v1
	v_readfirstlane_b32 s15, v2
	s_mul_i32 s5, s5, s14
	s_mul_i32 s4, s4, s15
	s_mul_hi_u32 s5, s14, s5
	s_mul_hi_u32 s4, s15, s4
	s_add_i32 s14, s14, s5
	s_add_i32 s15, s15, s4
	v_cmp_le_f32_e64 s[4:5], s9, 0
	s_and_b64 vcc, exec, s[4:5]
	s_cbranch_vccnz .LBB27_2
; %bb.1:
	v_mov_b32_e32 v1, s44
	v_sub_co_u32_e32 v1, vcc, s40, v1
	v_mov_b32_e32 v2, s11
	v_mov_b32_e32 v3, s10
	s_add_i32 s4, s40, 1
	v_lshlrev_b32_e32 v1, 1, v1
	v_cndmask_b32_e32 v2, v2, v3, vcc
	v_or_b32_e32 v1, 1, v1
	v_mov_b32_e32 v3, s4
	v_cndmask_b32_e32 v1, v1, v3, vcc
	v_cvt_f32_i32_e32 v1, v1
	v_cmp_neq_f32_e32 vcc, 1.0, v2
	s_mov_b32 s4, 0x3f2aaaab
	s_movk_i32 s6, 0x204
	v_cndmask_b32_e32 v1, 1.0, v1, vcc
	v_cmp_neq_f32_e32 vcc, 0, v1
	s_mov_b32 s5, 0x42b17218
	s_mov_b32 s7, 0x3fb8aa3b
	v_cndmask_b32_e32 v18, 1.0, v2, vcc
	v_frexp_mant_f32_e64 v2, |v18|
	v_cmp_gt_f32_e32 vcc, s4, v2
	s_mov_b32 s4, 0x3f317218
	s_brev_b32 s9, -2
	v_cndmask_b32_e64 v3, 1.0, 2.0, vcc
	v_mul_f32_e32 v2, v2, v3
	v_add_f32_e32 v5, 1.0, v2
	v_rcp_f32_e32 v10, v5
	v_add_f32_e32 v3, -1.0, v5
	v_sub_f32_e32 v7, v2, v3
	v_add_f32_e32 v3, -1.0, v2
	v_mul_f32_e32 v11, v3, v10
	v_mul_f32_e32 v4, v5, v11
	v_fma_f32 v6, v11, v5, -v4
	v_fmac_f32_e32 v6, v11, v7
	v_add_f32_e32 v2, v4, v6
	v_sub_f32_e32 v5, v3, v2
	v_pk_add_f32 v[8:9], v[2:3], v[4:5] neg_lo:[0,1] neg_hi:[0,1]
	v_mov_b32_e32 v7, v2
	v_pk_add_f32 v[2:3], v[8:9], v[6:7] neg_lo:[0,1] neg_hi:[0,1]
	v_mov_b32_e32 v6, 0x3e91f4c4
	v_add_f32_e32 v2, v2, v3
	v_add_f32_e32 v2, v5, v2
	v_mul_f32_e32 v3, v10, v2
	v_add_f32_e32 v2, v11, v3
	v_sub_f32_e32 v4, v2, v11
	v_sub_f32_e32 v12, v3, v4
	v_mul_f32_e32 v3, v2, v2
	v_fma_f32 v5, v2, v2, -v3
	v_add_f32_e32 v4, v12, v12
	v_fmac_f32_e32 v5, v2, v4
	v_add_f32_e32 v4, v3, v5
	v_fmac_f32_e32 v6, 0x3e76c4e1, v4
	v_fmaak_f32 v6, v4, v6, 0x3ecccdef
	v_sub_f32_e32 v3, v4, v3
	v_sub_f32_e32 v13, v5, v3
	v_mul_f32_e32 v3, v4, v6
	v_fma_f32 v5, v4, v6, -v3
	v_fmac_f32_e32 v5, v13, v6
	v_add_f32_e32 v6, v3, v5
	v_add_f32_e32 v7, 0x3f2aaaaa, v6
	v_sub_f32_e32 v3, v6, v3
	v_sub_f32_e32 v3, v5, v3
	v_add_f32_e32 v5, 0xbf2aaaaa, v7
	v_add_f32_e32 v3, 0x31739010, v3
	v_sub_f32_e32 v5, v6, v5
	v_pk_mul_f32 v[8:9], v[2:3], v[4:5]
	v_pk_add_f32 v[10:11], v[2:3], v[4:5]
	v_fma_f32 v6, v4, v2, -v8
	v_fmac_f32_e32 v6, v4, v12
	v_mov_b32_e32 v9, v11
	v_fmac_f32_e32 v6, v13, v2
	v_pk_add_f32 v[4:5], v[8:9], v[6:7]
	v_ldexp_f32 v14, v12, 1
	v_sub_f32_e32 v3, v4, v8
	v_sub_f32_e32 v3, v6, v3
	;; [unrolled: 1-line block ×3, first 2 shown]
	v_add_f32_e32 v9, v11, v6
	v_pk_mul_f32 v[6:7], v[4:5], v[4:5] op_sel:[0,1] op_sel_hi:[1,0]
	v_cvt_f64_f32_e64 v[10:11], |v18|
	v_frexp_exp_i32_f64_e32 v7, v[10:11]
	v_subbrev_co_u32_e32 v7, vcc, 0, v7, vcc
	v_cvt_f32_i32_e32 v7, v7
	v_fma_f32 v8, v4, v5, -v6
	v_fmac_f32_e32 v8, v4, v9
	v_fmac_f32_e32 v8, v3, v5
	v_mul_f32_e32 v4, 0x3f317218, v7
	v_fma_f32 v3, v7, s4, -v4
	v_fmamk_f32 v10, v7, 0xb102e308, v3
	v_ldexp_f32 v11, v2, 1
	v_add_f32_e32 v5, v6, v8
	v_pk_add_f32 v[2:3], v[4:5], v[10:11]
	v_mov_b32_e32 v12, v5
	v_mov_b32_e32 v13, v3
	;; [unrolled: 1-line block ×3, first 2 shown]
	v_pk_add_f32 v[6:7], v[12:13], v[6:7] neg_lo:[0,1] neg_hi:[0,1]
	v_mov_b32_e32 v9, v5
	v_pk_add_f32 v[6:7], v[8:9], v[6:7] neg_lo:[0,1] neg_hi:[0,1]
	v_mov_b32_e32 v11, v2
	v_add_f32_e32 v5, v14, v6
	v_add_f32_e32 v5, v5, v7
	v_pk_add_f32 v[6:7], v[2:3], v[4:5] neg_lo:[0,1] neg_hi:[0,1]
	v_pk_add_f32 v[8:9], v[2:3], v[4:5]
	v_mov_b32_e32 v16, v3
	v_mov_b32_e32 v7, v9
	v_pk_add_f32 v[12:13], v[10:11], v[6:7] neg_lo:[0,1] neg_hi:[0,1]
	v_pk_add_f32 v[6:7], v[10:11], v[6:7]
	v_mov_b32_e32 v4, v5
	v_pk_add_f32 v[10:11], v[6:7], v[2:3] op_sel:[1,0] op_sel_hi:[0,1] neg_lo:[0,1] neg_hi:[0,1]
	v_pk_add_f32 v[14:15], v[8:9], v[10:11] op_sel_hi:[1,0] neg_lo:[0,1] neg_hi:[0,1]
	v_mov_b32_e32 v8, v9
	v_mov_b32_e32 v9, v7
	;; [unrolled: 1-line block ×3, first 2 shown]
	v_pk_add_f32 v[8:9], v[8:9], v[16:17] neg_lo:[0,1] neg_hi:[0,1]
	v_mov_b32_e32 v5, v2
	v_pk_add_f32 v[2:3], v[4:5], v[8:9] neg_lo:[0,1] neg_hi:[0,1]
	v_mov_b32_e32 v14, v12
	v_pk_add_f32 v[4:5], v[14:15], v[2:3]
	v_mov_b32_e32 v13, v7
	v_pk_add_f32 v[8:9], v[4:5], v[4:5] op_sel:[0,1] op_sel_hi:[1,0]
	s_mov_b32 s4, 0x7f800000
	v_pk_add_f32 v[6:7], v[6:7], v[8:9] op_sel:[1,0] op_sel_hi:[0,1]
	v_mov_b32_e32 v5, v6
	v_pk_add_f32 v[10:11], v[4:5], v[12:13] neg_lo:[0,1] neg_hi:[0,1]
	v_mov_b32_e32 v3, v8
	v_sub_f32_e32 v4, v4, v10
	v_pk_add_f32 v[2:3], v[2:3], v[10:11] neg_lo:[0,1] neg_hi:[0,1]
	v_sub_f32_e32 v4, v12, v4
	v_add_f32_e32 v2, v2, v4
	v_add_f32_e32 v2, v2, v3
	;; [unrolled: 1-line block ×3, first 2 shown]
	v_sub_f32_e32 v4, v3, v6
	v_sub_f32_e32 v2, v2, v4
	v_mul_f32_e32 v4, v1, v3
	v_fma_f32 v3, v1, v3, -v4
	v_fmac_f32_e32 v3, v1, v2
	v_add_f32_e32 v2, v4, v3
	v_cmp_class_f32_e64 vcc, v4, s6
	v_sub_f32_e32 v5, v2, v4
	v_sub_f32_e32 v3, v3, v5
	v_cndmask_b32_e32 v2, v2, v4, vcc
	v_mov_b32_e32 v4, 0x37000000
	v_cmp_eq_f32_e32 vcc, s5, v2
	v_cmp_class_f32_e64 s[10:11], v18, s6
	s_nop 0
	v_cndmask_b32_e32 v4, 0, v4, vcc
	v_sub_f32_e32 v5, v2, v4
	v_mul_f32_e32 v6, 0x3fb8aa3b, v5
	v_fma_f32 v7, v5, s7, -v6
	v_rndne_f32_e32 v8, v6
	v_fmamk_f32 v7, v5, 0x32a5705f, v7
	v_sub_f32_e32 v6, v6, v8
	v_add_f32_e32 v6, v6, v7
	v_exp_f32_e32 v6, v6
	v_cvt_i32_f32_e32 v7, v8
	v_cmp_neq_f32_e64 vcc, |v2|, s4
	s_mov_b32 s4, 0xc2ce8ed0
	s_nop 0
	v_cndmask_b32_e32 v2, 0, v3, vcc
	v_ldexp_f32 v3, v6, v7
	v_cmp_ngt_f32_e32 vcc, s4, v5
	v_add_f32_e32 v2, v4, v2
	v_mov_b32_e32 v4, 0x7f800000
	v_cndmask_b32_e32 v3, 0, v3, vcc
	v_cmp_nlt_f32_e32 vcc, s5, v5
	v_mov_b32_e32 v5, 0x7fc00000
	s_nop 0
	v_cndmask_b32_e32 v3, v4, v3, vcc
	v_fma_f32 v2, v3, v2, v3
	v_cmp_class_f32_e64 vcc, v3, s6
	v_cmp_gt_f32_e64 s[6:7], 0, v1
	s_nop 0
	v_cndmask_b32_e32 v2, v2, v3, vcc
	v_trunc_f32_e32 v3, v1
	v_cmp_eq_f32_e32 vcc, v3, v1
	v_mul_f32_e32 v3, 0.5, v1
	v_trunc_f32_e32 v6, v3
	v_cmp_neq_f32_e64 s[4:5], v6, v3
	s_and_b64 s[4:5], vcc, s[4:5]
	s_nop 0
	v_cndmask_b32_e64 v3, 1.0, v18, s[4:5]
	v_bfi_b32 v2, s9, v2, v3
	v_cndmask_b32_e32 v3, v5, v2, vcc
	v_cmp_gt_f32_e32 vcc, 0, v18
	s_nop 1
	v_cndmask_b32_e32 v2, v2, v3, vcc
	v_cmp_eq_f32_e32 vcc, 0, v18
	s_xor_b64 s[6:7], s[6:7], vcc
	v_cndmask_b32_e64 v1, v4, 0, s[6:7]
	v_cndmask_b32_e64 v3, 0, v18, s[4:5]
	v_bfi_b32 v1, s9, v1, v3
	s_or_b64 vcc, vcc, s[10:11]
	v_cndmask_b32_e32 v1, v2, v1, vcc
	v_cmp_o_f32_e32 vcc, v18, v18
	s_nop 1
	v_cndmask_b32_e32 v133, v5, v1, vcc
.LBB27_2:
	s_load_dwordx16 s[16:31], s[0:1], 0x0
	v_bfe_u32 v129, v0, 10, 10
	s_mul_hi_u32 s50, s49, s14
	s_mul_hi_u32 s44, s43, s15
	v_and_b32_e32 v131, 0x3ff, v0
	v_cmp_eq_u32_e64 s[14:15], 0, v129
	v_mbcnt_lo_u32_b32 v132, -1, 0
	s_and_saveexec_b64 s[6:7], s[14:15]
	s_cbranch_execz .LBB27_11
; %bb.3:
	s_load_dwordx4 s[52:55], s[0:1], 0x70
	v_lshlrev_b32_e32 v0, 4, v131
	v_mbcnt_hi_u32_b32 v1, -1, v132
	v_and_b32_e32 v2, 0x60, v1
	v_xor_b32_e32 v3, 4, v1
	s_waitcnt lgkmcnt(0)
	s_mul_i32 s4, s33, s54
	s_mul_i32 s9, s52, s2
	;; [unrolled: 1-line block ×3, first 2 shown]
	s_add_i32 s4, s4, s9
	s_add_i32 s4, s4, s5
	s_ashr_i32 s5, s4, 31
	s_add_u32 s4, s16, s4
	s_addc_u32 s5, s17, s5
	global_load_dwordx4 v[12:15], v0, s[4:5]
	v_add_u32_e32 v8, 32, v2
	v_xor_b32_e32 v4, 2, v1
	v_cmp_lt_i32_e32 vcc, v3, v8
	v_xor_b32_e32 v5, 1, v1
	s_mov_b32 s16, 0x42fe0000
	v_cndmask_b32_e32 v2, v1, v3, vcc
	v_cmp_lt_i32_e32 vcc, v4, v8
	v_lshlrev_b32_e32 v7, 2, v2
	s_mov_b32 s9, s8
	v_cndmask_b32_e32 v3, v1, v4, vcc
	v_lshlrev_b32_e32 v6, 2, v3
	v_cmp_lt_i32_e32 vcc, v5, v8
	s_waitcnt vmcnt(0)
	v_mov_b32_e32 v2, v15
	v_mov_b32_e32 v3, v13
	v_mul_f32_e32 v11, s8, v12
	v_pk_mul_f32 v[2:3], s[36:37], v[2:3] op_sel_hi:[0,1]
	v_mul_f32_e32 v10, s8, v14
	v_max_f32_e64 v4, |v11|, |v3|
	v_max3_f32 v4, v4, |v10|, |v2|
	ds_bpermute_b32 v9, v7, v4
	v_fma_f32 v12, s8, v12, v3
	v_fmac_f32_e32 v12, s8, v14
	v_add_f32_e32 v12, v12, v2
	ds_bpermute_b32 v13, v7, v12
	s_waitcnt lgkmcnt(1)
	v_max_f32_e32 v9, v9, v9
	v_max_f32_e32 v4, v4, v9
	ds_bpermute_b32 v9, v6, v4
	v_cndmask_b32_e32 v1, v1, v5, vcc
	v_lshlrev_b32_e32 v8, 2, v1
	s_waitcnt lgkmcnt(1)
	v_add_f32_e32 v5, v12, v13
	ds_bpermute_b32 v12, v6, v5
	s_waitcnt lgkmcnt(1)
	v_max_f32_e32 v1, v9, v9
	v_max_f32_e32 v4, v4, v1
	ds_bpermute_b32 v9, v8, v4
	v_mov_b32_e32 v1, 0
	s_waitcnt lgkmcnt(1)
	v_add_f32_e32 v5, v5, v12
	s_waitcnt lgkmcnt(0)
	v_max_f32_e32 v9, v9, v9
	v_max_f32_e32 v4, v4, v9
	v_div_scale_f32 v12, s[10:11], s16, s16, v4
	v_rcp_f32_e32 v13, v12
	v_div_scale_f32 v14, vcc, v4, s16, v4
	ds_bpermute_b32 v9, v8, v5
	v_fma_f32 v15, -v12, v13, 1.0
	v_fmac_f32_e32 v13, v15, v13
	v_mul_f32_e32 v15, v14, v13
	v_fma_f32 v16, -v12, v15, v14
	v_fmac_f32_e32 v15, v16, v13
	v_fma_f32 v12, -v12, v15, v14
	v_div_fmas_f32 v12, v12, v13, v15
	v_div_fixup_f32 v4, v12, s16, v4
	v_cmp_neq_f32_e32 vcc, 0, v4
	v_mov_b32_e32 v12, v1
	s_and_saveexec_b64 s[10:11], vcc
	s_cbranch_execz .LBB27_5
; %bb.4:
	v_div_scale_f32 v12, s[16:17], v4, v4, v11
	v_rcp_f32_e32 v13, v12
	v_div_scale_f32 v14, vcc, v11, v4, v11
	s_brev_b32 s36, -2
	v_fma_f32 v15, -v12, v13, 1.0
	v_fmac_f32_e32 v13, v15, v13
	v_mul_f32_e32 v15, v14, v13
	v_fma_f32 v16, -v12, v15, v14
	v_fmac_f32_e32 v15, v16, v13
	v_fma_f32 v12, -v12, v15, v14
	v_div_fmas_f32 v12, v12, v13, v15
	v_div_fixup_f32 v11, v12, v4, v11
	v_trunc_f32_e32 v12, v11
	v_sub_f32_e32 v13, v11, v12
	v_cmp_ge_f32_e64 s[16:17], |v13|, 0.5
	s_nop 1
	v_cndmask_b32_e64 v13, 0, 1.0, s[16:17]
	v_div_scale_f32 v14, s[16:17], v4, v4, v2
	v_rcp_f32_e32 v15, v14
	v_bfi_b32 v11, s36, v13, v11
	v_add_f32_e32 v11, v12, v11
	v_cvt_i32_f32_e32 v11, v11
	v_fma_f32 v12, -v14, v15, 1.0
	v_fmac_f32_e32 v15, v12, v15
	v_div_scale_f32 v12, vcc, v2, v4, v2
	v_mul_f32_e32 v13, v12, v15
	v_fma_f32 v16, -v14, v13, v12
	v_fmac_f32_e32 v13, v16, v15
	v_div_scale_f32 v16, s[16:17], v4, v4, v3
	v_rcp_f32_e32 v17, v16
	v_fma_f32 v12, -v14, v13, v12
	v_div_fmas_f32 v12, v12, v15, v13
	v_div_fixup_f32 v2, v12, v4, v2
	v_fma_f32 v13, -v16, v17, 1.0
	v_fmac_f32_e32 v17, v13, v17
	v_div_scale_f32 v13, vcc, v3, v4, v3
	v_mul_f32_e32 v14, v13, v17
	v_fma_f32 v15, -v16, v14, v13
	v_fmac_f32_e32 v14, v15, v17
	v_div_scale_f32 v15, s[16:17], v4, v4, v10
	v_rcp_f32_e32 v18, v15
	v_fma_f32 v13, -v16, v14, v13
	v_div_fmas_f32 v13, v13, v17, v14
	v_div_fixup_f32 v3, v13, v4, v3
	v_fma_f32 v14, -v15, v18, 1.0
	v_fmac_f32_e32 v18, v14, v18
	v_div_scale_f32 v14, vcc, v10, v4, v10
	v_mul_f32_e32 v16, v14, v18
	v_fma_f32 v17, -v15, v16, v14
	v_fmac_f32_e32 v16, v17, v18
	v_fma_f32 v14, -v15, v16, v14
	v_div_fmas_f32 v14, v14, v18, v16
	v_div_fixup_f32 v10, v14, v4, v10
	v_trunc_f32_e32 v14, v10
	v_sub_f32_e32 v15, v10, v14
	v_trunc_f32_e32 v12, v3
	v_cmp_ge_f32_e64 s[16:17], |v15|, 0.5
	v_sub_f32_e32 v13, v3, v12
	s_nop 0
	v_cndmask_b32_e64 v15, 0, 1.0, s[16:17]
	v_cmp_ge_f32_e64 s[16:17], |v13|, 0.5
	v_bfi_b32 v10, s36, v15, v10
	v_add_f32_e32 v10, v14, v10
	v_cndmask_b32_e64 v13, 0, 1.0, s[16:17]
	v_bfi_b32 v3, s36, v13, v3
	v_add_f32_e32 v3, v12, v3
	v_trunc_f32_e32 v12, v2
	v_sub_f32_e32 v13, v2, v12
	v_cmp_ge_f32_e64 s[16:17], |v13|, 0.5
	v_cvt_i32_f32_e32 v10, v10
	v_cvt_i32_f32_e32 v3, v3
	v_cndmask_b32_e64 v13, 0, 1.0, s[16:17]
	v_bfi_b32 v2, s36, v13, v2
	v_add_f32_e32 v2, v12, v2
	v_cvt_i32_f32_e32 v2, v2
	v_and_b32_e32 v10, 0xff, v10
	v_lshlrev_b32_e32 v10, 16, v10
	v_mov_b32_e32 v12, 8
	v_lshlrev_b32_sdwa v3, v12, v3 dst_sel:DWORD dst_unused:UNUSED_PAD src0_sel:DWORD src1_sel:BYTE_0
	v_lshl_or_b32 v2, v2, 24, v10
	v_and_b32_e32 v10, 0xff, v11
	v_or3_b32 v12, v2, v3, v10
.LBB27_5:
	s_or_b64 exec, exec, s[10:11]
	v_and_b32_e32 v2, 7, v131
	v_lshl_add_u64 v[0:1], s[4:5], 0, v[0:1]
	v_lshlrev_b32_e32 v3, 2, v131
	v_cmp_eq_u32_e64 s[4:5], 0, v2
	ds_write_b32 v3, v12
	s_and_saveexec_b64 s[10:11], s[4:5]
	s_cbranch_execz .LBB27_7
; %bb.6:
	s_waitcnt lgkmcnt(1)
	v_add_f32_e32 v5, v5, v9
	ds_write_b64 v131, v[4:5] offset:256
.LBB27_7:
	s_or_b64 exec, exec, s[10:11]
	global_load_dwordx4 v[12:15], v[0:1], off offset:512
	s_mov_b32 s10, 0x42fe0000
	s_waitcnt vmcnt(0)
	v_mov_b32_e32 v0, v15
	v_mov_b32_e32 v1, v13
	v_mul_f32_e32 v10, s8, v12
	v_pk_mul_f32 v[0:1], s[8:9], v[0:1]
	s_waitcnt lgkmcnt(1)
	v_mul_f32_e32 v9, s8, v14
	v_max_f32_e64 v2, |v10|, |v1|
	v_max3_f32 v2, v2, |v9|, |v0|
	ds_bpermute_b32 v4, v7, v2
	v_fma_f32 v5, s8, v12, v1
	v_fmac_f32_e32 v5, s8, v14
	v_add_f32_e32 v5, v5, v0
	ds_bpermute_b32 v7, v7, v5
	s_waitcnt lgkmcnt(1)
	v_max_f32_e32 v4, v4, v4
	v_max_f32_e32 v2, v2, v4
	ds_bpermute_b32 v4, v6, v2
	s_waitcnt lgkmcnt(1)
	v_add_f32_e32 v5, v5, v7
	ds_bpermute_b32 v6, v6, v5
	s_waitcnt lgkmcnt(1)
	v_max_f32_e32 v4, v4, v4
	v_max_f32_e32 v2, v2, v4
	ds_bpermute_b32 v7, v8, v2
	s_waitcnt lgkmcnt(1)
	v_add_f32_e32 v4, v5, v6
	s_waitcnt lgkmcnt(0)
	v_max_f32_e32 v5, v7, v7
	v_max_f32_e32 v2, v2, v5
	v_div_scale_f32 v6, s[8:9], s10, s10, v2
	v_rcp_f32_e32 v7, v6
	ds_bpermute_b32 v5, v8, v4
	v_div_scale_f32 v8, vcc, v2, s10, v2
	v_fma_f32 v11, -v6, v7, 1.0
	v_fmac_f32_e32 v7, v11, v7
	v_mul_f32_e32 v11, v8, v7
	v_fma_f32 v12, -v6, v11, v8
	v_fmac_f32_e32 v11, v12, v7
	v_fma_f32 v6, -v6, v11, v8
	v_div_fmas_f32 v6, v6, v7, v11
	v_div_fixup_f32 v2, v6, s10, v2
	v_cmp_neq_f32_e32 vcc, 0, v2
	v_mov_b32_e32 v6, 0
	s_and_saveexec_b64 s[8:9], vcc
	s_cbranch_execz .LBB27_9
; %bb.8:
	v_div_scale_f32 v6, s[10:11], v2, v2, v10
	v_rcp_f32_e32 v7, v6
	v_div_scale_f32 v8, vcc, v10, v2, v10
	s_brev_b32 s16, -2
	v_fma_f32 v11, -v6, v7, 1.0
	v_fmac_f32_e32 v7, v11, v7
	v_mul_f32_e32 v11, v8, v7
	v_fma_f32 v12, -v6, v11, v8
	v_fmac_f32_e32 v11, v12, v7
	v_fma_f32 v6, -v6, v11, v8
	v_div_fmas_f32 v6, v6, v7, v11
	v_div_fixup_f32 v6, v6, v2, v10
	v_trunc_f32_e32 v7, v6
	v_sub_f32_e32 v8, v6, v7
	v_cmp_ge_f32_e64 s[10:11], |v8|, 0.5
	s_nop 1
	v_cndmask_b32_e64 v8, 0, 1.0, s[10:11]
	v_div_scale_f32 v10, s[10:11], v2, v2, v0
	v_rcp_f32_e32 v11, v10
	v_bfi_b32 v6, s16, v8, v6
	v_add_f32_e32 v6, v7, v6
	v_cvt_i32_f32_e32 v6, v6
	v_fma_f32 v7, -v10, v11, 1.0
	v_fmac_f32_e32 v11, v7, v11
	v_div_scale_f32 v7, vcc, v0, v2, v0
	v_mul_f32_e32 v8, v7, v11
	v_fma_f32 v12, -v10, v8, v7
	v_fmac_f32_e32 v8, v12, v11
	v_div_scale_f32 v12, s[10:11], v2, v2, v1
	v_rcp_f32_e32 v13, v12
	v_fma_f32 v7, -v10, v8, v7
	v_div_fmas_f32 v7, v7, v11, v8
	v_div_fixup_f32 v0, v7, v2, v0
	v_fma_f32 v8, -v12, v13, 1.0
	v_fmac_f32_e32 v13, v8, v13
	v_div_scale_f32 v8, vcc, v1, v2, v1
	v_mul_f32_e32 v10, v8, v13
	v_fma_f32 v11, -v12, v10, v8
	v_fmac_f32_e32 v10, v11, v13
	v_div_scale_f32 v11, s[10:11], v2, v2, v9
	v_rcp_f32_e32 v14, v11
	v_fma_f32 v8, -v12, v10, v8
	v_div_fmas_f32 v8, v8, v13, v10
	v_div_fixup_f32 v1, v8, v2, v1
	v_fma_f32 v10, -v11, v14, 1.0
	v_fmac_f32_e32 v14, v10, v14
	v_div_scale_f32 v10, vcc, v9, v2, v9
	v_mul_f32_e32 v12, v10, v14
	v_fma_f32 v13, -v11, v12, v10
	v_fmac_f32_e32 v12, v13, v14
	v_fma_f32 v10, -v11, v12, v10
	v_div_fmas_f32 v10, v10, v14, v12
	v_div_fixup_f32 v9, v10, v2, v9
	v_trunc_f32_e32 v10, v9
	v_sub_f32_e32 v11, v9, v10
	v_cmp_ge_f32_e64 s[10:11], |v11|, 0.5
	v_trunc_f32_e32 v8, v1
	v_and_b32_e32 v6, 0xff, v6
	v_cndmask_b32_e64 v11, 0, 1.0, s[10:11]
	v_bfi_b32 v9, s16, v11, v9
	v_add_f32_e32 v9, v10, v9
	v_cvt_i32_f32_e32 v9, v9
	v_and_b32_e32 v7, 0xff, v9
	v_sub_f32_e32 v9, v1, v8
	v_cmp_ge_f32_e64 s[10:11], |v9|, 0.5
	v_lshlrev_b32_e32 v7, 16, v7
	s_nop 0
	v_cndmask_b32_e64 v9, 0, 1.0, s[10:11]
	v_bfi_b32 v1, s16, v9, v1
	v_add_f32_e32 v1, v8, v1
	v_trunc_f32_e32 v8, v0
	v_sub_f32_e32 v9, v0, v8
	v_cmp_ge_f32_e64 s[10:11], |v9|, 0.5
	v_cvt_i32_f32_e32 v1, v1
	s_nop 0
	v_cndmask_b32_e64 v9, 0, 1.0, s[10:11]
	v_bfi_b32 v0, s16, v9, v0
	v_add_f32_e32 v0, v8, v0
	v_cvt_i32_f32_e32 v0, v0
	v_mov_b32_e32 v8, 8
	v_lshlrev_b32_sdwa v1, v8, v1 dst_sel:DWORD dst_unused:UNUSED_PAD src0_sel:DWORD src1_sel:BYTE_0
	v_lshl_or_b32 v0, v0, 24, v7
	v_or3_b32 v6, v0, v1, v6
.LBB27_9:
	s_or_b64 exec, exec, s[8:9]
	ds_write_b32 v3, v6 offset:128
	s_and_b64 exec, exec, s[4:5]
	s_cbranch_execz .LBB27_11
; %bb.10:
	s_waitcnt lgkmcnt(1)
	v_add_f32_e32 v3, v4, v5
	ds_write_b64 v131, v[2:3] offset:288
.LBB27_11:
	s_or_b64 exec, exec, s[6:7]
	v_and_b32_e32 v16, 3, v131
	v_lshlrev_b32_e32 v32, 2, v16
	v_mov_b32_e32 v137, 0
	s_waitcnt lgkmcnt(0)
	s_barrier
	ds_read2_b32 v[34:35], v32 offset1:4
	ds_read2_b32 v[36:37], v32 offset0:8 offset1:12
	ds_read_b128 v[0:3], v137 offset:256
	ds_read_b128 v[4:7], v137 offset:272
	;; [unrolled: 1-line block ×4, first 2 shown]
	ds_read2_b32 v[38:39], v32 offset0:16 offset1:20
	ds_read2_b32 v[40:41], v32 offset0:24 offset1:28
	;; [unrolled: 1-line block ×6, first 2 shown]
	s_ashr_i32 s41, s40, 31
	s_ashr_i32 s6, s38, 31
	;; [unrolled: 1-line block ×3, first 2 shown]
	s_cmp_eq_u64 s[26:27], 0
	s_waitcnt lgkmcnt(0)
	s_barrier
	s_cbranch_scc1 .LBB27_13
; %bb.12:
	s_load_dword s4, s[0:1], 0xd0
	s_mov_b32 s5, 0
	s_waitcnt lgkmcnt(0)
	s_mul_i32 s4, s4, s33
	s_add_i32 s4, s4, s2
	s_lshl_b64 s[4:5], s[4:5], 2
	s_add_u32 s4, s26, s4
	s_addc_u32 s5, s27, s5
	s_load_dword s42, s[4:5], 0x0
.LBB27_13:
	v_lshlrev_b32_e32 v17, 5, v129
	v_add_u32_e32 v134, v17, v131
	s_lshl_b32 s16, s3, 7
	s_mov_b32 s27, 0
	s_waitcnt lgkmcnt(0)
	s_cmp_ge_i32 s16, s42
	v_lshlrev_b32_e32 v135, 1, v134
	v_lshlrev_b32_e32 v136, 2, v131
	s_cbranch_scc1 .LBB27_41
; %bb.14:
	s_load_dwordx4 s[36:39], s[0:1], 0x98
	s_load_dwordx2 s[46:47], s[0:1], 0x8c
	s_load_dwordx2 s[4:5], s[0:1], 0xa8
	s_xor_b32 s6, s41, s6
	s_add_i32 s11, s50, 1
	s_waitcnt lgkmcnt(0)
	s_mul_hi_u32 s7, s36, s33
	s_mul_i32 s9, s36, s8
	s_mul_i32 s10, s37, s33
	s_add_i32 s7, s7, s9
	s_add_i32 s7, s7, s10
	s_mul_i32 s10, s50, s48
	s_sub_i32 s10, s49, s10
	s_sub_i32 s17, s10, s48
	s_cmp_ge_u32 s10, s48
	s_cselect_b32 s11, s11, s50
	s_cselect_b32 s10, s17, s10
	s_add_i32 s17, s11, 1
	s_cmp_ge_u32 s10, s48
	s_cselect_b32 s10, s17, s11
	s_xor_b32 s10, s10, s6
	s_sub_i32 s10, s10, s6
	s_mul_i32 s6, s10, s47
	s_mul_i32 s9, s36, s33
	s_ashr_i32 s11, s6, 31
	s_add_u32 s9, s18, s9
	s_addc_u32 s7, s19, s7
	s_add_u32 s9, s9, s6
	s_mul_hi_u32 s17, s4, s33
	s_mul_i32 s18, s4, s8
	s_addc_u32 s11, s7, s11
	s_add_i32 s17, s17, s18
	s_mul_i32 s5, s5, s33
	s_mul_i32 s10, s10, s39
	s_add_i32 s17, s17, s5
	s_mul_i32 s4, s4, s33
	s_ashr_i32 s5, s10, 31
	s_add_u32 s4, s20, s4
	s_addc_u32 s17, s21, s17
	s_add_u32 s10, s4, s10
	s_mul_i32 s44, s44, s12
	s_addc_u32 s21, s17, s5
	s_sub_i32 s4, s43, s44
	v_mul_lo_u32 v60, v17, s38
	s_sub_i32 s5, s4, s12
	v_add_u32_e32 v66, s38, v60
	s_cmp_ge_u32 s4, s12
	v_add_u32_e32 v68, s38, v66
	s_cselect_b32 s4, s5, s4
	v_add_u32_e32 v70, s38, v68
	s_sub_i32 s5, s4, s12
	v_add_u32_e32 v72, s38, v70
	s_cmp_ge_u32 s4, s12
	v_add_u32_e32 v74, s38, v72
	s_load_dwordx2 s[6:7], s[0:1], 0xc8
	s_load_dword s26, s[0:1], 0xd4
	s_cselect_b32 s4, s5, s4
	v_add_u32_e32 v76, s38, v74
	s_xor_b32 s4, s4, s8
	v_add_u32_e32 v78, s38, v76
	s_sub_i32 s4, s4, s8
	v_add_u32_e32 v80, s38, v78
	s_ashr_i32 s5, s4, 31
	v_add_u32_e32 v82, s38, v80
	s_waitcnt lgkmcnt(0)
	s_mul_i32 s5, s6, s5
	s_mul_hi_u32 s8, s6, s4
	v_add_u32_e32 v84, s38, v82
	s_add_i32 s5, s8, s5
	s_mul_i32 s7, s7, s4
	v_add_u32_e32 v86, s38, v84
	s_add_i32 s5, s5, s7
	s_mul_i32 s4, s6, s4
	v_add_u32_e32 v88, s38, v86
	s_add_u32 s4, s22, s4
	s_mul_i32 s6, s13, s2
	v_mbcnt_hi_u32_b32 v19, -1, v132
	v_add_u32_e32 v90, s38, v88
	s_addc_u32 s5, s23, s5
	s_ashr_i32 s7, s6, 31
	v_and_b32_e32 v20, 0x7c, v19
	v_add_u32_e32 v92, s38, v90
	s_add_u32 s6, s4, s6
	s_mov_b32 s17, s27
	v_add_u32_e32 v20, 4, v20
	v_xor_b32_e32 v21, 2, v19
	v_add_u32_e32 v94, s38, v92
	s_addc_u32 s7, s5, s7
	s_lshl_b64 s[4:5], s[16:17], 1
	v_cmp_lt_i32_e32 vcc, v21, v20
	v_add_u32_e32 v96, s38, v94
	s_add_u32 s18, s6, s4
	v_cndmask_b32_e32 v21, v19, v21, vcc
	v_add_u32_e32 v98, s38, v96
	s_addc_u32 s19, s7, s5
	s_mul_i32 s4, s38, s16
	v_lshlrev_b32_e32 v138, 2, v21
	v_xor_b32_e32 v21, 1, v19
	v_add_u32_e32 v100, s38, v98
	s_add_u32 s20, s10, s4
	v_cmp_lt_i32_e32 vcc, v21, v20
	v_add_u32_e32 v102, s38, v100
	s_addc_u32 s21, s21, 0
	s_mul_i32 s4, s46, s16
	v_cndmask_b32_e32 v20, v19, v21, vcc
	v_add_u32_e32 v104, s38, v102
	s_add_u32 s36, s9, s4
	v_lshlrev_b32_e32 v139, 2, v20
	v_and_b32_e32 v20, 0x60, v19
	v_add_u32_e32 v106, s38, v104
	s_addc_u32 s37, s11, 0
	v_add_u32_e32 v20, 32, v20
	v_cmp_eq_u32_e64 s[4:5], 3, v16
	v_cmp_eq_u32_e64 s[6:7], 0, v16
	;; [unrolled: 1-line block ×4, first 2 shown]
	v_xor_b32_e32 v16, 4, v19
	v_add_u32_e32 v108, s38, v106
	v_cmp_lt_i32_e32 vcc, v16, v20
	v_add_u32_e32 v110, s38, v108
	v_add_u32_e32 v112, s38, v110
	v_cndmask_b32_e32 v16, v19, v16, vcc
	v_lshlrev_b32_e32 v140, 2, v16
	v_xor_b32_e32 v16, 8, v19
	v_add_u32_e32 v114, s38, v112
	v_and_b32_e32 v18, 0x7c, v131
	v_cmp_lt_i32_e32 vcc, v16, v20
	v_add_u32_e32 v116, s38, v114
	v_add_u32_e32 v18, v17, v18
	v_cndmask_b32_e32 v16, v19, v16, vcc
	v_add_u32_e32 v118, s38, v116
	v_mul_lo_u32 v52, v18, s46
	v_lshlrev_b32_e32 v141, 2, v16
	v_xor_b32_e32 v16, 16, v19
	v_add_u32_e32 v120, s38, v118
	v_add_u32_e32 v54, s46, v52
	v_cmp_lt_i32_e32 vcc, v16, v20
	v_add_u32_e32 v122, s38, v120
	s_cmp_lg_u64 s[22:23], 0
	v_add_u32_e32 v56, s46, v54
	v_cndmask_b32_e32 v16, v19, v16, vcc
	v_add_u32_e32 v124, s38, v122
	v_mov_b32_e32 v51, 0
	s_cselect_b64 s[22:23], -1, 0
	s_lshl_b32 s26, s26, 7
	v_add_u32_e32 v58, s46, v56
	v_lshlrev_b32_e32 v142, 2, v16
	v_add_u32_e32 v16, 0x80, v136
	v_add_u32_e32 v126, s38, v124
	v_and_b32_e32 v145, 28, v136
	v_mov_b32_e32 v33, v51
	s_mul_i32 s17, s26, s46
	s_mul_i32 s43, s26, s38
	v_ashrrev_i32_e32 v53, 31, v52
	v_ashrrev_i32_e32 v55, 31, v54
	;; [unrolled: 1-line block ×4, first 2 shown]
	v_lshlrev_b32_e32 v143, 1, v17
	v_ashrrev_i32_e32 v61, 31, v60
	v_and_b32_e32 v62, 12, v136
	v_mov_b32_e32 v63, v51
	v_and_b32_e32 v64, 12, v16
	v_mov_b32_e32 v65, v51
	v_ashrrev_i32_e32 v67, 31, v66
	v_ashrrev_i32_e32 v69, 31, v68
	v_ashrrev_i32_e32 v71, 31, v70
	v_ashrrev_i32_e32 v73, 31, v72
	v_ashrrev_i32_e32 v75, 31, v74
	v_ashrrev_i32_e32 v77, 31, v76
	v_ashrrev_i32_e32 v79, 31, v78
	v_ashrrev_i32_e32 v81, 31, v80
	v_ashrrev_i32_e32 v83, 31, v82
	v_ashrrev_i32_e32 v85, 31, v84
	v_ashrrev_i32_e32 v87, 31, v86
	v_ashrrev_i32_e32 v89, 31, v88
	v_ashrrev_i32_e32 v91, 31, v90
	v_ashrrev_i32_e32 v93, 31, v92
	v_ashrrev_i32_e32 v95, 31, v94
	v_lshlrev_b32_e32 v50, 1, v18
	v_ashrrev_i32_e32 v97, 31, v96
	v_ashrrev_i32_e32 v99, 31, v98
	;; [unrolled: 1-line block ×16, first 2 shown]
	s_movk_i32 s44, 0x1000
	s_mov_b32 s46, 0x3f200000
	s_mov_b32 s47, 0x3fb8aa3b
	;; [unrolled: 1-line block ×4, first 2 shown]
	s_brev_b32 s50, -2
	s_mov_b32 s51, 0x10001
	v_or_b32_e32 v144, 16, v32
	v_and_b32_e32 v146, 4, v131
	v_or_b32_e32 v147, 1, v145
	v_or_b32_e32 v148, 2, v145
	;; [unrolled: 1-line block ×3, first 2 shown]
	v_lshrrev_b32_e32 v128, 5, v16
	v_mov_b32_e32 v26, 0xfeffffff
	v_mov_b32_e32 v150, 0x3ca908c9
	;; [unrolled: 1-line block ×9, first 2 shown]
	v_bfe_u32 v130, v131, 3, 27
                                        ; implicit-def: $vgpr17
                                        ; implicit-def: $vgpr17
	;; [unrolled: 1-line block ×3, first 2 shown]
                                        ; implicit-def: $vgpr153
.LBB27_15:                              ; =>This Inner Loop Header: Depth=1
	v_lshl_add_u64 v[16:17], s[36:37], 0, v[52:53]
	v_lshl_add_u64 v[18:19], v[16:17], 0, v[32:33]
	global_load_dword v27, v[18:19], off offset:8
	global_load_dwordx2 v[20:21], v[16:17], off
	s_waitcnt vmcnt(1)
	v_and_b32_e32 v28, 0xf0f0f0f, v27
	s_waitcnt vmcnt(0)
	v_ashrrev_i32_e32 v29, v32, v21
	v_lshlrev_b32_e32 v30, 4, v29
	v_lshlrev_b32_e32 v31, 11, v29
	;; [unrolled: 1-line block ×4, first 2 shown]
	v_and_b32_e32 v154, 0x100000, v154
	v_and_b32_e32 v29, 0x10000000, v29
	;; [unrolled: 1-line block ×4, first 2 shown]
	v_or3_b32 v28, v29, v28, v154
	v_ashrrev_i32_e32 v21, v144, v21
	v_or3_b32 v28, v28, v30, v31
	v_lshrrev_b32_e32 v27, 4, v27
	v_lshlrev_b32_e32 v30, 4, v21
	v_lshlrev_b32_e32 v31, 11, v21
	;; [unrolled: 1-line block ×4, first 2 shown]
	v_mov_b32_e32 v29, 0
	v_and_b32_e32 v27, 0xf0f0f0f, v27
	v_and_b32_e32 v154, 0x100000, v154
	;; [unrolled: 1-line block ×3, first 2 shown]
	v_dot4c_i32_i8_e32 v29, v28, v34
	v_cvt_f32_f16_e32 v28, v20
	v_cvt_f32_f16_sdwa v20, v20 dst_sel:DWORD dst_unused:UNUSED_PAD src0_sel:WORD_1
	v_and_b32_e32 v30, 16, v30
	v_and_b32_e32 v31, 0x1000, v31
	v_or3_b32 v21, v21, v27, v154
	v_or3_b32 v21, v21, v30, v31
	v_mov_b32_e32 v27, 0
	v_cvt_f32_i32_e32 v29, v29
	v_dot4c_i32_i8_e32 v27, v21, v35
	v_mul_f32_e32 v20, v1, v20
	v_mul_f32_e32 v28, v0, v28
	;; [unrolled: 1-line block ×3, first 2 shown]
	v_cvt_f32_i32_e32 v21, v27
	v_fma_f32 v29, v28, v29, v20
	v_add_f32_e32 v29, 0, v29
	v_fmac_f32_e32 v20, v28, v21
	v_add_f32_e32 v27, v20, v29
	global_load_dword v28, v[18:19], off offset:32
	global_load_dwordx2 v[20:21], v[16:17], off offset:24
	s_waitcnt vmcnt(1)
	v_and_b32_e32 v29, 0xf0f0f0f, v28
	s_waitcnt vmcnt(0)
	v_ashrrev_i32_e32 v30, v32, v21
	v_lshlrev_b32_e32 v31, 4, v30
	v_lshlrev_b32_e32 v154, 11, v30
	;; [unrolled: 1-line block ×4, first 2 shown]
	v_and_b32_e32 v155, 0x100000, v155
	v_and_b32_e32 v30, 0x10000000, v30
	;; [unrolled: 1-line block ×4, first 2 shown]
	v_or3_b32 v29, v30, v29, v155
	v_or3_b32 v29, v29, v31, v154
	v_mov_b32_e32 v30, 0
	v_dot4c_i32_i8_e32 v30, v29, v36
	v_cvt_f32_f16_e32 v29, v20
	v_cvt_f32_f16_sdwa v20, v20 dst_sel:DWORD dst_unused:UNUSED_PAD src0_sel:WORD_1
	v_ashrrev_i32_e32 v21, v144, v21
	v_cvt_f32_i32_e32 v30, v30
	v_mul_f32_e32 v29, v2, v29
	v_mul_f32_e32 v20, v3, v20
	;; [unrolled: 1-line block ×3, first 2 shown]
	v_fma_f32 v30, v29, v30, v20
	v_add_f32_e32 v27, v27, v30
	v_lshrrev_b32_e32 v28, 4, v28
	v_lshlrev_b32_e32 v30, 4, v21
	v_lshlrev_b32_e32 v31, 11, v21
	;; [unrolled: 1-line block ×4, first 2 shown]
	v_and_b32_e32 v28, 0xf0f0f0f, v28
	v_and_b32_e32 v154, 0x100000, v154
	;; [unrolled: 1-line block ×5, first 2 shown]
	v_or3_b32 v21, v21, v28, v154
	v_or3_b32 v21, v21, v30, v31
	v_mov_b32_e32 v28, 0
	v_dot4c_i32_i8_e32 v28, v21, v37
	s_nop 2
	v_cvt_f32_i32_e32 v21, v28
	global_load_dword v28, v[18:19], off offset:56
	v_fmac_f32_e32 v20, v29, v21
	v_add_f32_e32 v27, v20, v27
	global_load_dwordx2 v[20:21], v[16:17], off offset:48
	s_waitcnt vmcnt(1)
	v_and_b32_e32 v29, 0xf0f0f0f, v28
	v_lshrrev_b32_e32 v28, 4, v28
	v_and_b32_e32 v28, 0xf0f0f0f, v28
	s_waitcnt vmcnt(0)
	v_ashrrev_i32_e32 v30, v32, v21
	v_lshlrev_b32_e32 v31, 4, v30
	v_lshlrev_b32_e32 v154, 11, v30
	;; [unrolled: 1-line block ×4, first 2 shown]
	v_and_b32_e32 v155, 0x100000, v155
	v_and_b32_e32 v30, 0x10000000, v30
	;; [unrolled: 1-line block ×4, first 2 shown]
	v_or3_b32 v29, v30, v29, v155
	v_or3_b32 v29, v29, v31, v154
	v_mov_b32_e32 v30, 0
	v_dot4c_i32_i8_e32 v30, v29, v38
	v_cvt_f32_f16_e32 v29, v20
	v_cvt_f32_f16_sdwa v20, v20 dst_sel:DWORD dst_unused:UNUSED_PAD src0_sel:WORD_1
	v_ashrrev_i32_e32 v21, v144, v21
	v_cvt_f32_i32_e32 v30, v30
	v_mul_f32_e32 v29, v4, v29
	v_mul_f32_e32 v20, v5, v20
	;; [unrolled: 1-line block ×3, first 2 shown]
	v_fma_f32 v30, v29, v30, v20
	v_add_f32_e32 v27, v27, v30
	v_lshlrev_b32_e32 v30, 4, v21
	v_lshlrev_b32_e32 v31, 11, v21
	;; [unrolled: 1-line block ×4, first 2 shown]
	v_and_b32_e32 v154, 0x100000, v154
	v_and_b32_e32 v21, 0x10000000, v21
	v_and_b32_e32 v30, 16, v30
	v_and_b32_e32 v31, 0x1000, v31
	v_or3_b32 v21, v21, v28, v154
	v_or3_b32 v21, v21, v30, v31
	v_mov_b32_e32 v28, 0
	v_dot4c_i32_i8_e32 v28, v21, v39
	s_nop 2
	v_cvt_f32_i32_e32 v21, v28
	v_fmac_f32_e32 v20, v29, v21
	v_add_f32_e32 v27, v20, v27
	global_load_dword v29, v[18:19], off offset:80
	global_load_dwordx2 v[20:21], v[16:17], off offset:72
	s_waitcnt vmcnt(1)
	v_and_b32_e32 v28, 0xf0f0f0f, v29
	s_waitcnt vmcnt(0)
	v_ashrrev_i32_e32 v30, v32, v21
	v_lshlrev_b32_e32 v31, 4, v30
	v_lshlrev_b32_e32 v154, 11, v30
	v_lshlrev_b32_e32 v155, 18, v30
	v_lshlrev_b32_e32 v30, 25, v30
	v_and_b32_e32 v155, 0x100000, v155
	v_and_b32_e32 v30, 0x10000000, v30
	v_and_b32_e32 v31, 16, v31
	v_and_b32_e32 v154, 0x1000, v154
	v_or3_b32 v28, v30, v28, v155
	v_or3_b32 v28, v28, v31, v154
	v_mov_b32_e32 v30, 0
	v_dot4c_i32_i8_e32 v30, v28, v40
	v_cvt_f32_f16_e32 v28, v20
	v_cvt_f32_f16_sdwa v31, v20 dst_sel:DWORD dst_unused:UNUSED_PAD src0_sel:WORD_1
	v_ashrrev_i32_e32 v21, v144, v21
	v_lshrrev_b32_e32 v29, 4, v29
	v_mul_f32_e32 v20, v6, v28
	v_mul_f32_e32 v28, v7, v31
	v_lshlrev_b32_e32 v31, 4, v21
	v_lshlrev_b32_e32 v154, 11, v21
	v_lshlrev_b32_e32 v155, 18, v21
	v_lshlrev_b32_e32 v21, 25, v21
	v_and_b32_e32 v29, 0xf0f0f0f, v29
	v_and_b32_e32 v155, 0x100000, v155
	v_and_b32_e32 v21, 0x10000000, v21
	v_and_b32_e32 v31, 16, v31
	v_and_b32_e32 v154, 0x1000, v154
	v_or3_b32 v21, v21, v29, v155
	v_or3_b32 v21, v21, v31, v154
	v_mov_b32_e32 v29, 0
	v_dot4c_i32_i8_e32 v29, v21, v41
	v_cvt_f32_i32_e32 v31, v30
	v_mul_f32_e32 v28, 0x3e000000, v28
	s_nop 0
	v_cvt_f32_i32_e32 v30, v29
	v_pk_fma_f32 v[20:21], v[20:21], v[30:31], v[28:29] op_sel_hi:[0,1,0]
	v_add_f32_e32 v21, v27, v21
	v_add_f32_e32 v27, v20, v21
	global_load_dword v29, v[18:19], off offset:104
	global_load_dwordx2 v[20:21], v[16:17], off offset:96
	s_waitcnt vmcnt(1)
	v_and_b32_e32 v28, 0xf0f0f0f, v29
	s_waitcnt vmcnt(0)
	v_ashrrev_i32_e32 v30, v32, v21
	v_lshlrev_b32_e32 v31, 4, v30
	v_lshlrev_b32_e32 v154, 11, v30
	v_lshlrev_b32_e32 v155, 18, v30
	v_lshlrev_b32_e32 v30, 25, v30
	v_and_b32_e32 v155, 0x100000, v155
	v_and_b32_e32 v30, 0x10000000, v30
	v_and_b32_e32 v31, 16, v31
	v_and_b32_e32 v154, 0x1000, v154
	v_or3_b32 v28, v30, v28, v155
	v_or3_b32 v28, v28, v31, v154
	v_mov_b32_e32 v30, 0
	v_dot4c_i32_i8_e32 v30, v28, v42
	v_cvt_f32_f16_e32 v28, v20
	v_cvt_f32_f16_sdwa v31, v20 dst_sel:DWORD dst_unused:UNUSED_PAD src0_sel:WORD_1
	v_ashrrev_i32_e32 v21, v144, v21
	v_lshrrev_b32_e32 v29, 4, v29
	v_mul_f32_e32 v20, v8, v28
	v_mul_f32_e32 v28, v9, v31
	v_lshlrev_b32_e32 v31, 4, v21
	v_lshlrev_b32_e32 v154, 11, v21
	v_lshlrev_b32_e32 v155, 18, v21
	v_lshlrev_b32_e32 v21, 25, v21
	v_and_b32_e32 v29, 0xf0f0f0f, v29
	v_and_b32_e32 v155, 0x100000, v155
	v_and_b32_e32 v21, 0x10000000, v21
	v_and_b32_e32 v31, 16, v31
	v_and_b32_e32 v154, 0x1000, v154
	v_or3_b32 v21, v21, v29, v155
	v_or3_b32 v21, v21, v31, v154
	v_mov_b32_e32 v29, 0
	v_dot4c_i32_i8_e32 v29, v21, v43
	v_cvt_f32_i32_e32 v31, v30
	v_mul_f32_e32 v28, 0x3e000000, v28
	s_nop 0
	v_cvt_f32_i32_e32 v30, v29
	v_pk_fma_f32 v[20:21], v[20:21], v[30:31], v[28:29] op_sel_hi:[0,1,0]
	v_add_f32_e32 v21, v27, v21
	;; [unrolled: 44-line block ×3, first 2 shown]
	v_add_f32_e32 v27, v20, v21
	global_load_dword v29, v[18:19], off offset:152
	global_load_dwordx2 v[20:21], v[16:17], off offset:144
	s_waitcnt vmcnt(1)
	v_and_b32_e32 v28, 0xf0f0f0f, v29
	global_load_dword v19, v[18:19], off offset:176
	s_waitcnt vmcnt(1)
	v_ashrrev_i32_e32 v30, v32, v21
	global_load_dwordx2 v[16:17], v[16:17], off offset:168
	v_lshlrev_b32_e32 v31, 4, v30
	v_lshlrev_b32_e32 v154, 11, v30
	;; [unrolled: 1-line block ×4, first 2 shown]
	v_and_b32_e32 v155, 0x100000, v155
	v_and_b32_e32 v30, 0x10000000, v30
	;; [unrolled: 1-line block ×4, first 2 shown]
	v_or3_b32 v28, v30, v28, v155
	v_or3_b32 v28, v28, v31, v154
	v_mov_b32_e32 v30, 0
	v_dot4c_i32_i8_e32 v30, v28, v46
	v_cvt_f32_f16_e32 v28, v20
	v_cvt_f32_f16_sdwa v31, v20 dst_sel:DWORD dst_unused:UNUSED_PAD src0_sel:WORD_1
	v_ashrrev_i32_e32 v21, v144, v21
	v_lshrrev_b32_e32 v29, 4, v29
	v_mul_f32_e32 v20, v12, v28
	v_mul_f32_e32 v28, v13, v31
	v_lshlrev_b32_e32 v31, 4, v21
	v_lshlrev_b32_e32 v154, 11, v21
	;; [unrolled: 1-line block ×4, first 2 shown]
	v_and_b32_e32 v29, 0xf0f0f0f, v29
	v_and_b32_e32 v155, 0x100000, v155
	;; [unrolled: 1-line block ×5, first 2 shown]
	v_or3_b32 v21, v21, v29, v155
	v_or3_b32 v21, v21, v31, v154
	v_mov_b32_e32 v29, 0
	v_dot4c_i32_i8_e32 v29, v21, v47
	v_cvt_f32_i32_e32 v31, v30
	v_mul_f32_e32 v28, 0x3e000000, v28
	s_waitcnt vmcnt(1)
	v_and_b32_e32 v18, 0xf0f0f0f, v19
	v_cvt_f32_i32_e32 v30, v29
	v_lshrrev_b32_e32 v19, 4, v19
	v_and_b32_e32 v19, 0xf0f0f0f, v19
	v_pk_fma_f32 v[20:21], v[20:21], v[30:31], v[28:29] op_sel_hi:[0,1,0]
	v_add_f32_e32 v21, v27, v21
	v_add_f32_e32 v27, v20, v21
	s_waitcnt vmcnt(0)
	v_ashrrev_i32_e32 v20, v32, v17
	v_lshlrev_b32_e32 v21, 4, v20
	v_lshlrev_b32_e32 v28, 11, v20
	;; [unrolled: 1-line block ×4, first 2 shown]
	v_and_b32_e32 v29, 0x100000, v29
	v_and_b32_e32 v20, 0x10000000, v20
	;; [unrolled: 1-line block ×4, first 2 shown]
	v_or3_b32 v18, v20, v18, v29
	v_or3_b32 v18, v18, v21, v28
	v_mov_b32_e32 v20, 0
	v_dot4c_i32_i8_e32 v20, v18, v48
	v_cvt_f32_f16_e32 v18, v16
	v_cvt_f32_f16_sdwa v21, v16 dst_sel:DWORD dst_unused:UNUSED_PAD src0_sel:WORD_1
	v_ashrrev_i32_e32 v17, v144, v17
	v_lshlrev_b32_e32 v28, 11, v17
	v_mul_f32_e32 v16, v14, v18
	v_mul_f32_e32 v18, v15, v21
	v_lshlrev_b32_e32 v21, 4, v17
	v_lshlrev_b32_e32 v29, 18, v17
	;; [unrolled: 1-line block ×3, first 2 shown]
	v_and_b32_e32 v29, 0x100000, v29
	v_and_b32_e32 v17, 0x10000000, v17
	;; [unrolled: 1-line block ×4, first 2 shown]
	v_or3_b32 v17, v17, v19, v29
	v_or3_b32 v17, v17, v21, v28
	v_mov_b32_e32 v19, 0
	v_dot4c_i32_i8_e32 v19, v17, v49
	v_cvt_f32_i32_e32 v21, v20
	v_mul_f32_e32 v18, 0x3e000000, v18
	s_nop 0
	v_cvt_f32_i32_e32 v20, v19
	v_pk_fma_f32 v[16:17], v[16:17], v[20:21], v[18:19] op_sel_hi:[0,1,0]
	v_add_f32_e32 v17, v27, v17
	v_add_f32_e32 v16, v16, v17
	ds_bpermute_b32 v17, v138, v16
                                        ; implicit-def: $vgpr19
	s_waitcnt lgkmcnt(0)
	v_add_f32_e32 v16, v16, v17
	ds_bpermute_b32 v17, v139, v16
	s_waitcnt lgkmcnt(0)
	v_add_f32_e32 v18, v16, v17
	v_cmp_nlt_f32_e64 s[12:13], |v18|, s46
	s_and_saveexec_b64 s[38:39], s[12:13]
	s_xor_b64 s[12:13], exec, s[38:39]
	s_cbranch_execz .LBB27_17
; %bb.16:                               ;   in Loop: Header=BB27_15 Depth=1
	v_add_f32_e64 v16, |v18|, |v18|
	v_mul_f32_e32 v17, 0x3fb8aa3b, v16
	v_rndne_f32_e32 v19, v17
	v_sub_f32_e32 v20, v17, v19
	v_fma_f32 v17, v16, s47, -v17
	v_fmac_f32_e32 v17, 0x32a5705f, v16
	v_add_f32_e32 v17, v20, v17
	v_cvt_i32_f32_e32 v19, v19
	v_exp_f32_e32 v17, v17
	v_cmp_ngt_f32_e32 vcc, s48, v16
	v_ldexp_f32 v17, v17, v19
	s_nop 0
	v_cndmask_b32_e32 v17, 0, v17, vcc
	v_cmp_nlt_f32_e32 vcc, s49, v16
	s_nop 1
	v_cndmask_b32_e32 v16, v151, v17, vcc
	v_add_f32_e32 v16, 1.0, v16
	v_rcp_f32_e32 v16, v16
	s_nop 0
	v_fma_f32 v19, v16, -2.0, 1.0
.LBB27_17:                              ;   in Loop: Header=BB27_15 Depth=1
	s_andn2_saveexec_b64 s[12:13], s[12:13]
; %bb.18:                               ;   in Loop: Header=BB27_15 Depth=1
	v_mul_f32_e32 v16, v18, v18
	v_fmamk_f32 v17, v16, 0xbbbac73d, v150
	v_fmaak_f32 v17, v16, v17, 0xbd5c1c4e
	v_fmaak_f32 v17, v16, v17, 0x3e088382
	;; [unrolled: 1-line block ×3, first 2 shown]
	v_mul_f32_e64 v17, |v18|, v17
	v_fma_f32 v19, v16, v17, |v18|
; %bb.19:                               ;   in Loop: Header=BB27_15 Depth=1
	s_or_b64 exec, exec, s[12:13]
	v_bfi_b32 v18, s50, v19, v18
	v_cndmask_b32_e64 v19, 0, 1, s[22:23]
	v_lshl_add_u64 v[16:17], s[18:19], 0, v[50:51]
	v_cmp_ne_u32_e64 s[12:13], 1, v19
	s_andn2_b64 vcc, exec, s[22:23]
	v_mul_f32_e32 v27, s45, v18
	s_cbranch_vccnz .LBB27_21
; %bb.20:                               ;   in Loop: Header=BB27_15 Depth=1
	global_load_ushort v18, v[16:17], off
	s_waitcnt vmcnt(0)
	v_fma_mix_f32 v27, v133, v18, v27 op_sel_hi:[0,1,0]
.LBB27_21:                              ;   in Loop: Header=BB27_15 Depth=1
	v_lshl_add_u64 v[18:19], s[36:37], 0, v[54:55]
	v_lshl_add_u64 v[20:21], v[18:19], 0, v[32:33]
	global_load_dword v30, v[20:21], off offset:8
	global_load_dwordx2 v[28:29], v[18:19], off
	s_waitcnt vmcnt(1)
	v_and_b32_e32 v31, 0xf0f0f0f, v30
	s_waitcnt vmcnt(0)
	v_ashrrev_i32_e32 v154, v32, v29
	v_lshlrev_b32_e32 v155, 4, v154
	v_lshlrev_b32_e32 v156, 11, v154
	;; [unrolled: 1-line block ×4, first 2 shown]
	v_and_b32_e32 v157, 0x100000, v157
	v_and_b32_e32 v154, 0x10000000, v154
	;; [unrolled: 1-line block ×4, first 2 shown]
	v_or3_b32 v31, v154, v31, v157
	v_ashrrev_i32_e32 v29, v144, v29
	v_or3_b32 v31, v31, v155, v156
	v_lshrrev_b32_e32 v30, 4, v30
	v_lshlrev_b32_e32 v155, 4, v29
	v_lshlrev_b32_e32 v156, 11, v29
	;; [unrolled: 1-line block ×4, first 2 shown]
	v_mov_b32_e32 v154, v51
	v_and_b32_e32 v30, 0xf0f0f0f, v30
	v_and_b32_e32 v157, 0x100000, v157
	;; [unrolled: 1-line block ×3, first 2 shown]
	v_dot4c_i32_i8_e32 v154, v31, v34
	v_cvt_f32_f16_e32 v31, v28
	v_cvt_f32_f16_sdwa v28, v28 dst_sel:DWORD dst_unused:UNUSED_PAD src0_sel:WORD_1
	v_and_b32_e32 v155, 16, v155
	v_and_b32_e32 v156, 0x1000, v156
	v_or3_b32 v29, v29, v30, v157
	v_or3_b32 v29, v29, v155, v156
	v_mov_b32_e32 v30, v51
	v_cvt_f32_i32_e32 v154, v154
	v_dot4c_i32_i8_e32 v30, v29, v35
	v_mul_f32_e32 v28, v1, v28
	v_mul_f32_e32 v31, v0, v31
	;; [unrolled: 1-line block ×3, first 2 shown]
	v_cvt_f32_i32_e32 v29, v30
	v_fma_f32 v154, v31, v154, v28
	v_add_f32_e32 v154, 0, v154
	v_fmac_f32_e32 v28, v31, v29
	v_add_f32_e32 v30, v28, v154
	global_load_dword v31, v[20:21], off offset:32
	global_load_dwordx2 v[28:29], v[18:19], off offset:24
	s_waitcnt vmcnt(1)
	v_and_b32_e32 v154, 0xf0f0f0f, v31
	s_waitcnt vmcnt(0)
	v_ashrrev_i32_e32 v155, v32, v29
	v_lshlrev_b32_e32 v156, 4, v155
	v_lshlrev_b32_e32 v157, 11, v155
	;; [unrolled: 1-line block ×4, first 2 shown]
	v_and_b32_e32 v158, 0x100000, v158
	v_and_b32_e32 v155, 0x10000000, v155
	;; [unrolled: 1-line block ×4, first 2 shown]
	v_or3_b32 v154, v155, v154, v158
	v_or3_b32 v154, v154, v156, v157
	v_mov_b32_e32 v155, v51
	v_dot4c_i32_i8_e32 v155, v154, v36
	v_cvt_f32_f16_e32 v154, v28
	v_cvt_f32_f16_sdwa v28, v28 dst_sel:DWORD dst_unused:UNUSED_PAD src0_sel:WORD_1
	v_ashrrev_i32_e32 v29, v144, v29
	v_cvt_f32_i32_e32 v155, v155
	v_mul_f32_e32 v154, v2, v154
	v_mul_f32_e32 v28, v3, v28
	;; [unrolled: 1-line block ×3, first 2 shown]
	v_fma_f32 v155, v154, v155, v28
	v_add_f32_e32 v30, v30, v155
	v_lshrrev_b32_e32 v31, 4, v31
	v_lshlrev_b32_e32 v155, 4, v29
	v_lshlrev_b32_e32 v156, 11, v29
	;; [unrolled: 1-line block ×4, first 2 shown]
	v_and_b32_e32 v31, 0xf0f0f0f, v31
	v_and_b32_e32 v157, 0x100000, v157
	v_and_b32_e32 v29, 0x10000000, v29
	v_and_b32_e32 v155, 16, v155
	v_and_b32_e32 v156, 0x1000, v156
	v_or3_b32 v29, v29, v31, v157
	v_or3_b32 v29, v29, v155, v156
	v_mov_b32_e32 v31, v51
	v_dot4c_i32_i8_e32 v31, v29, v37
	s_nop 2
	v_cvt_f32_i32_e32 v29, v31
	global_load_dword v31, v[20:21], off offset:56
	v_fmac_f32_e32 v28, v154, v29
	v_add_f32_e32 v30, v28, v30
	global_load_dwordx2 v[28:29], v[18:19], off offset:48
	s_waitcnt vmcnt(1)
	v_and_b32_e32 v154, 0xf0f0f0f, v31
	v_lshrrev_b32_e32 v31, 4, v31
	v_and_b32_e32 v31, 0xf0f0f0f, v31
	s_waitcnt vmcnt(0)
	v_ashrrev_i32_e32 v155, v32, v29
	v_lshlrev_b32_e32 v156, 4, v155
	v_lshlrev_b32_e32 v157, 11, v155
	;; [unrolled: 1-line block ×4, first 2 shown]
	v_and_b32_e32 v158, 0x100000, v158
	v_and_b32_e32 v155, 0x10000000, v155
	v_and_b32_e32 v156, 16, v156
	v_and_b32_e32 v157, 0x1000, v157
	v_or3_b32 v154, v155, v154, v158
	v_or3_b32 v154, v154, v156, v157
	v_mov_b32_e32 v155, v51
	v_dot4c_i32_i8_e32 v155, v154, v38
	v_cvt_f32_f16_e32 v154, v28
	v_cvt_f32_f16_sdwa v28, v28 dst_sel:DWORD dst_unused:UNUSED_PAD src0_sel:WORD_1
	v_ashrrev_i32_e32 v29, v144, v29
	v_cvt_f32_i32_e32 v155, v155
	v_mul_f32_e32 v154, v4, v154
	v_mul_f32_e32 v28, v5, v28
	;; [unrolled: 1-line block ×3, first 2 shown]
	v_fma_f32 v155, v154, v155, v28
	v_add_f32_e32 v30, v30, v155
	v_lshlrev_b32_e32 v155, 4, v29
	v_lshlrev_b32_e32 v156, 11, v29
	;; [unrolled: 1-line block ×4, first 2 shown]
	v_and_b32_e32 v157, 0x100000, v157
	v_and_b32_e32 v29, 0x10000000, v29
	;; [unrolled: 1-line block ×4, first 2 shown]
	v_or3_b32 v29, v29, v31, v157
	v_or3_b32 v29, v29, v155, v156
	v_mov_b32_e32 v31, v51
	v_dot4c_i32_i8_e32 v31, v29, v39
	s_nop 2
	v_cvt_f32_i32_e32 v29, v31
	v_fmac_f32_e32 v28, v154, v29
	v_add_f32_e32 v31, v28, v30
	global_load_dword v154, v[20:21], off offset:80
	global_load_dwordx2 v[28:29], v[18:19], off offset:72
	s_waitcnt vmcnt(1)
	v_and_b32_e32 v30, 0xf0f0f0f, v154
	s_waitcnt vmcnt(0)
	v_ashrrev_i32_e32 v155, v32, v29
	v_lshlrev_b32_e32 v156, 4, v155
	v_lshlrev_b32_e32 v157, 11, v155
	v_lshlrev_b32_e32 v158, 18, v155
	v_lshlrev_b32_e32 v155, 25, v155
	v_and_b32_e32 v158, 0x100000, v158
	v_and_b32_e32 v155, 0x10000000, v155
	v_and_b32_e32 v156, 16, v156
	v_and_b32_e32 v157, 0x1000, v157
	v_or3_b32 v30, v155, v30, v158
	v_or3_b32 v30, v30, v156, v157
	v_mov_b32_e32 v155, v51
	v_dot4c_i32_i8_e32 v155, v30, v40
	v_cvt_f32_f16_e32 v30, v28
	v_cvt_f32_f16_sdwa v156, v28 dst_sel:DWORD dst_unused:UNUSED_PAD src0_sel:WORD_1
	v_ashrrev_i32_e32 v29, v144, v29
	v_lshrrev_b32_e32 v154, 4, v154
	v_mul_f32_e32 v28, v6, v30
	v_mul_f32_e32 v30, v7, v156
	v_lshlrev_b32_e32 v156, 4, v29
	v_lshlrev_b32_e32 v157, 11, v29
	v_lshlrev_b32_e32 v158, 18, v29
	v_lshlrev_b32_e32 v29, 25, v29
	v_and_b32_e32 v154, 0xf0f0f0f, v154
	v_and_b32_e32 v158, 0x100000, v158
	v_and_b32_e32 v29, 0x10000000, v29
	v_and_b32_e32 v156, 16, v156
	v_and_b32_e32 v157, 0x1000, v157
	v_or3_b32 v29, v29, v154, v158
	v_or3_b32 v29, v29, v156, v157
	v_mov_b32_e32 v154, v51
	v_dot4c_i32_i8_e32 v154, v29, v41
	v_cvt_f32_i32_e32 v155, v155
	v_mul_f32_e32 v30, 0x3e000000, v30
	s_nop 0
	v_cvt_f32_i32_e32 v154, v154
	v_pk_fma_f32 v[28:29], v[28:29], v[154:155], v[30:31] op_sel_hi:[0,1,0]
	v_add_f32_e32 v29, v31, v29
	v_add_f32_e32 v31, v28, v29
	global_load_dword v154, v[20:21], off offset:104
	global_load_dwordx2 v[28:29], v[18:19], off offset:96
	s_waitcnt vmcnt(1)
	v_and_b32_e32 v30, 0xf0f0f0f, v154
	s_waitcnt vmcnt(0)
	v_ashrrev_i32_e32 v155, v32, v29
	v_lshlrev_b32_e32 v156, 4, v155
	v_lshlrev_b32_e32 v157, 11, v155
	v_lshlrev_b32_e32 v158, 18, v155
	v_lshlrev_b32_e32 v155, 25, v155
	v_and_b32_e32 v158, 0x100000, v158
	v_and_b32_e32 v155, 0x10000000, v155
	v_and_b32_e32 v156, 16, v156
	v_and_b32_e32 v157, 0x1000, v157
	v_or3_b32 v30, v155, v30, v158
	v_or3_b32 v30, v30, v156, v157
	v_mov_b32_e32 v155, v51
	v_dot4c_i32_i8_e32 v155, v30, v42
	v_cvt_f32_f16_e32 v30, v28
	v_cvt_f32_f16_sdwa v156, v28 dst_sel:DWORD dst_unused:UNUSED_PAD src0_sel:WORD_1
	v_ashrrev_i32_e32 v29, v144, v29
	v_lshrrev_b32_e32 v154, 4, v154
	v_mul_f32_e32 v28, v8, v30
	v_mul_f32_e32 v30, v9, v156
	v_lshlrev_b32_e32 v156, 4, v29
	v_lshlrev_b32_e32 v157, 11, v29
	v_lshlrev_b32_e32 v158, 18, v29
	v_lshlrev_b32_e32 v29, 25, v29
	v_and_b32_e32 v154, 0xf0f0f0f, v154
	v_and_b32_e32 v158, 0x100000, v158
	v_and_b32_e32 v29, 0x10000000, v29
	v_and_b32_e32 v156, 16, v156
	v_and_b32_e32 v157, 0x1000, v157
	v_or3_b32 v29, v29, v154, v158
	v_or3_b32 v29, v29, v156, v157
	v_mov_b32_e32 v154, v51
	v_dot4c_i32_i8_e32 v154, v29, v43
	v_cvt_f32_i32_e32 v155, v155
	v_mul_f32_e32 v30, 0x3e000000, v30
	s_nop 0
	v_cvt_f32_i32_e32 v154, v154
	v_pk_fma_f32 v[28:29], v[28:29], v[154:155], v[30:31] op_sel_hi:[0,1,0]
	v_add_f32_e32 v29, v31, v29
	;; [unrolled: 44-line block ×3, first 2 shown]
	v_add_f32_e32 v31, v28, v29
	global_load_dword v154, v[20:21], off offset:152
	global_load_dwordx2 v[28:29], v[18:19], off offset:144
	s_waitcnt vmcnt(1)
	v_and_b32_e32 v30, 0xf0f0f0f, v154
	global_load_dword v21, v[20:21], off offset:176
	s_waitcnt vmcnt(1)
	v_ashrrev_i32_e32 v155, v32, v29
	global_load_dwordx2 v[18:19], v[18:19], off offset:168
	v_lshlrev_b32_e32 v156, 4, v155
	v_lshlrev_b32_e32 v157, 11, v155
	;; [unrolled: 1-line block ×4, first 2 shown]
	v_and_b32_e32 v158, 0x100000, v158
	v_and_b32_e32 v155, 0x10000000, v155
	;; [unrolled: 1-line block ×4, first 2 shown]
	v_or3_b32 v30, v155, v30, v158
	v_or3_b32 v30, v30, v156, v157
	v_mov_b32_e32 v155, v51
	v_dot4c_i32_i8_e32 v155, v30, v46
	v_cvt_f32_f16_e32 v30, v28
	v_cvt_f32_f16_sdwa v156, v28 dst_sel:DWORD dst_unused:UNUSED_PAD src0_sel:WORD_1
	v_ashrrev_i32_e32 v29, v144, v29
	v_lshrrev_b32_e32 v154, 4, v154
	v_mul_f32_e32 v28, v12, v30
	v_mul_f32_e32 v30, v13, v156
	v_lshlrev_b32_e32 v156, 4, v29
	v_lshlrev_b32_e32 v157, 11, v29
	;; [unrolled: 1-line block ×4, first 2 shown]
	v_and_b32_e32 v154, 0xf0f0f0f, v154
	v_and_b32_e32 v158, 0x100000, v158
	;; [unrolled: 1-line block ×5, first 2 shown]
	v_or3_b32 v29, v29, v154, v158
	v_or3_b32 v29, v29, v156, v157
	v_mov_b32_e32 v154, v51
	v_dot4c_i32_i8_e32 v154, v29, v47
	v_cvt_f32_i32_e32 v155, v155
	v_mul_f32_e32 v30, 0x3e000000, v30
	s_waitcnt vmcnt(1)
	v_and_b32_e32 v20, 0xf0f0f0f, v21
	v_cvt_f32_i32_e32 v154, v154
	v_lshrrev_b32_e32 v21, 4, v21
	v_and_b32_e32 v21, 0xf0f0f0f, v21
	v_pk_fma_f32 v[28:29], v[28:29], v[154:155], v[30:31] op_sel_hi:[0,1,0]
	v_add_f32_e32 v29, v31, v29
	v_add_f32_e32 v30, v28, v29
	s_waitcnt vmcnt(0)
	v_ashrrev_i32_e32 v28, v32, v19
	v_lshlrev_b32_e32 v29, 4, v28
	v_lshlrev_b32_e32 v31, 11, v28
	;; [unrolled: 1-line block ×4, first 2 shown]
	v_and_b32_e32 v154, 0x100000, v154
	v_and_b32_e32 v28, 0x10000000, v28
	;; [unrolled: 1-line block ×4, first 2 shown]
	v_or3_b32 v20, v28, v20, v154
	v_or3_b32 v20, v20, v29, v31
	v_mov_b32_e32 v28, v51
	v_dot4c_i32_i8_e32 v28, v20, v48
	v_cvt_f32_f16_e32 v20, v18
	v_cvt_f32_f16_sdwa v29, v18 dst_sel:DWORD dst_unused:UNUSED_PAD src0_sel:WORD_1
	v_ashrrev_i32_e32 v19, v144, v19
	v_lshlrev_b32_e32 v31, 11, v19
	v_mul_f32_e32 v18, v14, v20
	v_mul_f32_e32 v20, v15, v29
	v_lshlrev_b32_e32 v29, 4, v19
	v_lshlrev_b32_e32 v154, 18, v19
	;; [unrolled: 1-line block ×3, first 2 shown]
	v_and_b32_e32 v154, 0x100000, v154
	v_and_b32_e32 v19, 0x10000000, v19
	;; [unrolled: 1-line block ×4, first 2 shown]
	v_or3_b32 v19, v19, v21, v154
	v_or3_b32 v19, v19, v29, v31
	v_mov_b32_e32 v21, v51
	v_dot4c_i32_i8_e32 v21, v19, v49
	v_cvt_f32_i32_e32 v29, v28
	v_mul_f32_e32 v20, 0x3e000000, v20
	s_nop 0
	v_cvt_f32_i32_e32 v28, v21
	v_pk_fma_f32 v[18:19], v[18:19], v[28:29], v[20:21] op_sel_hi:[0,1,0]
	v_add_f32_e32 v19, v30, v19
	v_add_f32_e32 v18, v18, v19
	ds_bpermute_b32 v19, v138, v18
	s_waitcnt lgkmcnt(0)
	v_add_f32_e32 v18, v18, v19
	ds_bpermute_b32 v19, v139, v18
	s_waitcnt lgkmcnt(0)
	v_add_f32_e32 v18, v18, v19
	v_cmp_nlt_f32_e64 s[38:39], |v18|, s46
                                        ; implicit-def: $vgpr19
	s_and_saveexec_b64 s[52:53], s[38:39]
	s_xor_b64 s[38:39], exec, s[52:53]
	s_cbranch_execz .LBB27_23
; %bb.22:                               ;   in Loop: Header=BB27_15 Depth=1
	v_add_f32_e64 v19, |v18|, |v18|
	v_mul_f32_e32 v20, 0x3fb8aa3b, v19
	v_rndne_f32_e32 v21, v20
	v_sub_f32_e32 v28, v20, v21
	v_fma_f32 v20, v19, s47, -v20
	v_fmac_f32_e32 v20, 0x32a5705f, v19
	v_add_f32_e32 v20, v28, v20
	v_cvt_i32_f32_e32 v21, v21
	v_exp_f32_e32 v20, v20
	v_cmp_ngt_f32_e32 vcc, s48, v19
	v_ldexp_f32 v20, v20, v21
	s_nop 0
	v_cndmask_b32_e32 v20, 0, v20, vcc
	v_cmp_nlt_f32_e32 vcc, s49, v19
	s_nop 1
	v_cndmask_b32_e32 v19, v151, v20, vcc
	v_add_f32_e32 v19, 1.0, v19
	v_rcp_f32_e32 v19, v19
	s_nop 0
	v_fma_f32 v19, v19, -2.0, 1.0
.LBB27_23:                              ;   in Loop: Header=BB27_15 Depth=1
	s_andn2_saveexec_b64 s[38:39], s[38:39]
; %bb.24:                               ;   in Loop: Header=BB27_15 Depth=1
	v_mul_f32_e32 v19, v18, v18
	v_fmamk_f32 v20, v19, 0xbbbac73d, v150
	v_fmaak_f32 v20, v19, v20, 0xbd5c1c4e
	v_fmaak_f32 v20, v19, v20, 0x3e088382
	;; [unrolled: 1-line block ×3, first 2 shown]
	v_mul_f32_e64 v20, |v18|, v20
	v_fma_f32 v19, v19, v20, |v18|
; %bb.25:                               ;   in Loop: Header=BB27_15 Depth=1
	s_or_b64 exec, exec, s[38:39]
	v_bfi_b32 v18, s50, v19, v18
	s_and_b64 vcc, exec, s[12:13]
	v_mul_f32_e32 v28, s45, v18
	s_cbranch_vccnz .LBB27_27
; %bb.26:                               ;   in Loop: Header=BB27_15 Depth=1
	global_load_ushort v18, v[16:17], off offset:2
	s_waitcnt vmcnt(0)
	v_fma_mix_f32 v28, v133, v18, v28 op_sel_hi:[0,1,0]
.LBB27_27:                              ;   in Loop: Header=BB27_15 Depth=1
	v_lshl_add_u64 v[18:19], s[36:37], 0, v[56:57]
	v_lshl_add_u64 v[20:21], v[18:19], 0, v[32:33]
	global_load_dword v29, v[20:21], off offset:8
	global_load_dwordx2 v[30:31], v[18:19], off
	s_waitcnt vmcnt(1)
	v_and_b32_e32 v154, 0xf0f0f0f, v29
	s_waitcnt vmcnt(0)
	v_ashrrev_i32_e32 v155, v32, v31
	v_lshlrev_b32_e32 v156, 4, v155
	v_lshlrev_b32_e32 v157, 11, v155
	;; [unrolled: 1-line block ×4, first 2 shown]
	v_and_b32_e32 v158, 0x100000, v158
	v_and_b32_e32 v155, 0x10000000, v155
	;; [unrolled: 1-line block ×4, first 2 shown]
	v_or3_b32 v154, v155, v154, v158
	v_ashrrev_i32_e32 v31, v144, v31
	v_or3_b32 v154, v154, v156, v157
	v_lshrrev_b32_e32 v29, 4, v29
	v_lshlrev_b32_e32 v156, 4, v31
	v_lshlrev_b32_e32 v157, 11, v31
	;; [unrolled: 1-line block ×4, first 2 shown]
	v_mov_b32_e32 v155, v51
	v_and_b32_e32 v29, 0xf0f0f0f, v29
	v_and_b32_e32 v158, 0x100000, v158
	;; [unrolled: 1-line block ×3, first 2 shown]
	v_dot4c_i32_i8_e32 v155, v154, v34
	v_cvt_f32_f16_e32 v154, v30
	v_cvt_f32_f16_sdwa v30, v30 dst_sel:DWORD dst_unused:UNUSED_PAD src0_sel:WORD_1
	v_and_b32_e32 v156, 16, v156
	v_and_b32_e32 v157, 0x1000, v157
	v_or3_b32 v29, v31, v29, v158
	v_or3_b32 v29, v29, v156, v157
	v_mov_b32_e32 v31, v51
	v_cvt_f32_i32_e32 v155, v155
	v_dot4c_i32_i8_e32 v31, v29, v35
	v_mul_f32_e32 v30, v1, v30
	v_mul_f32_e32 v154, v0, v154
	;; [unrolled: 1-line block ×3, first 2 shown]
	v_cvt_f32_i32_e32 v29, v31
	v_fma_f32 v155, v154, v155, v30
	v_add_f32_e32 v155, 0, v155
	v_fmac_f32_e32 v30, v154, v29
	v_add_f32_e32 v29, v30, v155
	global_load_dword v154, v[20:21], off offset:32
	global_load_dwordx2 v[30:31], v[18:19], off offset:24
	s_waitcnt vmcnt(1)
	v_and_b32_e32 v155, 0xf0f0f0f, v154
	s_waitcnt vmcnt(0)
	v_ashrrev_i32_e32 v156, v32, v31
	v_lshlrev_b32_e32 v157, 4, v156
	v_lshlrev_b32_e32 v158, 11, v156
	;; [unrolled: 1-line block ×4, first 2 shown]
	v_and_b32_e32 v159, 0x100000, v159
	v_and_b32_e32 v156, 0x10000000, v156
	;; [unrolled: 1-line block ×4, first 2 shown]
	v_or3_b32 v155, v156, v155, v159
	v_or3_b32 v155, v155, v157, v158
	v_mov_b32_e32 v156, v51
	v_dot4c_i32_i8_e32 v156, v155, v36
	v_cvt_f32_f16_e32 v155, v30
	v_cvt_f32_f16_sdwa v30, v30 dst_sel:DWORD dst_unused:UNUSED_PAD src0_sel:WORD_1
	v_ashrrev_i32_e32 v31, v144, v31
	v_cvt_f32_i32_e32 v156, v156
	v_mul_f32_e32 v155, v2, v155
	v_mul_f32_e32 v30, v3, v30
	;; [unrolled: 1-line block ×3, first 2 shown]
	v_fma_f32 v156, v155, v156, v30
	v_add_f32_e32 v29, v29, v156
	v_lshrrev_b32_e32 v154, 4, v154
	v_lshlrev_b32_e32 v156, 4, v31
	v_lshlrev_b32_e32 v157, 11, v31
	;; [unrolled: 1-line block ×4, first 2 shown]
	v_and_b32_e32 v154, 0xf0f0f0f, v154
	v_and_b32_e32 v158, 0x100000, v158
	;; [unrolled: 1-line block ×5, first 2 shown]
	v_or3_b32 v31, v31, v154, v158
	v_or3_b32 v31, v31, v156, v157
	v_mov_b32_e32 v154, v51
	v_dot4c_i32_i8_e32 v154, v31, v37
	s_nop 2
	v_cvt_f32_i32_e32 v31, v154
	global_load_dword v154, v[20:21], off offset:56
	v_fmac_f32_e32 v30, v155, v31
	v_add_f32_e32 v29, v30, v29
	global_load_dwordx2 v[30:31], v[18:19], off offset:48
	s_waitcnt vmcnt(1)
	v_and_b32_e32 v155, 0xf0f0f0f, v154
	v_lshrrev_b32_e32 v154, 4, v154
	v_and_b32_e32 v154, 0xf0f0f0f, v154
	s_waitcnt vmcnt(0)
	v_ashrrev_i32_e32 v156, v32, v31
	v_lshlrev_b32_e32 v157, 4, v156
	v_lshlrev_b32_e32 v158, 11, v156
	;; [unrolled: 1-line block ×4, first 2 shown]
	v_and_b32_e32 v159, 0x100000, v159
	v_and_b32_e32 v156, 0x10000000, v156
	;; [unrolled: 1-line block ×4, first 2 shown]
	v_or3_b32 v155, v156, v155, v159
	v_or3_b32 v155, v155, v157, v158
	v_mov_b32_e32 v156, v51
	v_dot4c_i32_i8_e32 v156, v155, v38
	v_cvt_f32_f16_e32 v155, v30
	v_cvt_f32_f16_sdwa v30, v30 dst_sel:DWORD dst_unused:UNUSED_PAD src0_sel:WORD_1
	v_ashrrev_i32_e32 v31, v144, v31
	v_cvt_f32_i32_e32 v156, v156
	v_mul_f32_e32 v155, v4, v155
	v_mul_f32_e32 v30, v5, v30
	;; [unrolled: 1-line block ×3, first 2 shown]
	v_fma_f32 v156, v155, v156, v30
	v_add_f32_e32 v29, v29, v156
	v_lshlrev_b32_e32 v156, 4, v31
	v_lshlrev_b32_e32 v157, 11, v31
	;; [unrolled: 1-line block ×4, first 2 shown]
	v_and_b32_e32 v158, 0x100000, v158
	v_and_b32_e32 v31, 0x10000000, v31
	;; [unrolled: 1-line block ×4, first 2 shown]
	v_or3_b32 v31, v31, v154, v158
	v_or3_b32 v31, v31, v156, v157
	v_mov_b32_e32 v154, v51
	v_dot4c_i32_i8_e32 v154, v31, v39
	s_nop 2
	v_cvt_f32_i32_e32 v31, v154
	v_fmac_f32_e32 v30, v155, v31
	v_add_f32_e32 v29, v30, v29
	global_load_dword v155, v[20:21], off offset:80
	global_load_dwordx2 v[30:31], v[18:19], off offset:72
	s_waitcnt vmcnt(1)
	v_and_b32_e32 v154, 0xf0f0f0f, v155
	s_waitcnt vmcnt(0)
	v_ashrrev_i32_e32 v156, v32, v31
	v_lshlrev_b32_e32 v157, 4, v156
	v_lshlrev_b32_e32 v158, 11, v156
	v_lshlrev_b32_e32 v159, 18, v156
	v_lshlrev_b32_e32 v156, 25, v156
	v_and_b32_e32 v159, 0x100000, v159
	v_and_b32_e32 v156, 0x10000000, v156
	v_and_b32_e32 v157, 16, v157
	v_and_b32_e32 v158, 0x1000, v158
	v_or3_b32 v154, v156, v154, v159
	v_or3_b32 v154, v154, v157, v158
	v_mov_b32_e32 v156, v51
	v_dot4c_i32_i8_e32 v156, v154, v40
	v_cvt_f32_f16_e32 v154, v30
	v_cvt_f32_f16_sdwa v157, v30 dst_sel:DWORD dst_unused:UNUSED_PAD src0_sel:WORD_1
	v_ashrrev_i32_e32 v31, v144, v31
	v_lshrrev_b32_e32 v155, 4, v155
	v_mul_f32_e32 v30, v6, v154
	v_mul_f32_e32 v154, v7, v157
	v_lshlrev_b32_e32 v157, 4, v31
	v_lshlrev_b32_e32 v158, 11, v31
	v_lshlrev_b32_e32 v159, 18, v31
	v_lshlrev_b32_e32 v31, 25, v31
	v_and_b32_e32 v155, 0xf0f0f0f, v155
	v_and_b32_e32 v159, 0x100000, v159
	v_and_b32_e32 v31, 0x10000000, v31
	v_and_b32_e32 v157, 16, v157
	v_and_b32_e32 v158, 0x1000, v158
	v_or3_b32 v31, v31, v155, v159
	v_or3_b32 v31, v31, v157, v158
	v_mov_b32_e32 v155, v51
	v_dot4c_i32_i8_e32 v155, v31, v41
	v_cvt_f32_i32_e32 v157, v156
	v_mul_f32_e32 v154, 0x3e000000, v154
	s_nop 0
	v_cvt_f32_i32_e32 v156, v155
	v_pk_fma_f32 v[30:31], v[30:31], v[156:157], v[154:155] op_sel_hi:[0,1,0]
	v_add_f32_e32 v29, v29, v31
	v_add_f32_e32 v29, v30, v29
	global_load_dword v155, v[20:21], off offset:104
	global_load_dwordx2 v[30:31], v[18:19], off offset:96
	s_waitcnt vmcnt(1)
	v_and_b32_e32 v154, 0xf0f0f0f, v155
	s_waitcnt vmcnt(0)
	v_ashrrev_i32_e32 v156, v32, v31
	v_lshlrev_b32_e32 v157, 4, v156
	v_lshlrev_b32_e32 v158, 11, v156
	v_lshlrev_b32_e32 v159, 18, v156
	v_lshlrev_b32_e32 v156, 25, v156
	v_and_b32_e32 v159, 0x100000, v159
	v_and_b32_e32 v156, 0x10000000, v156
	v_and_b32_e32 v157, 16, v157
	v_and_b32_e32 v158, 0x1000, v158
	v_or3_b32 v154, v156, v154, v159
	v_or3_b32 v154, v154, v157, v158
	v_mov_b32_e32 v156, v51
	v_dot4c_i32_i8_e32 v156, v154, v42
	v_cvt_f32_f16_e32 v154, v30
	v_cvt_f32_f16_sdwa v157, v30 dst_sel:DWORD dst_unused:UNUSED_PAD src0_sel:WORD_1
	v_ashrrev_i32_e32 v31, v144, v31
	v_lshrrev_b32_e32 v155, 4, v155
	v_mul_f32_e32 v30, v8, v154
	v_mul_f32_e32 v154, v9, v157
	v_lshlrev_b32_e32 v157, 4, v31
	v_lshlrev_b32_e32 v158, 11, v31
	v_lshlrev_b32_e32 v159, 18, v31
	v_lshlrev_b32_e32 v31, 25, v31
	v_and_b32_e32 v155, 0xf0f0f0f, v155
	v_and_b32_e32 v159, 0x100000, v159
	v_and_b32_e32 v31, 0x10000000, v31
	v_and_b32_e32 v157, 16, v157
	v_and_b32_e32 v158, 0x1000, v158
	v_or3_b32 v31, v31, v155, v159
	v_or3_b32 v31, v31, v157, v158
	v_mov_b32_e32 v155, v51
	v_dot4c_i32_i8_e32 v155, v31, v43
	v_cvt_f32_i32_e32 v157, v156
	v_mul_f32_e32 v154, 0x3e000000, v154
	s_nop 0
	v_cvt_f32_i32_e32 v156, v155
	v_pk_fma_f32 v[30:31], v[30:31], v[156:157], v[154:155] op_sel_hi:[0,1,0]
	v_add_f32_e32 v29, v29, v31
	;; [unrolled: 44-line block ×3, first 2 shown]
	v_add_f32_e32 v29, v30, v29
	global_load_dword v155, v[20:21], off offset:152
	global_load_dwordx2 v[30:31], v[18:19], off offset:144
	s_waitcnt vmcnt(1)
	v_and_b32_e32 v154, 0xf0f0f0f, v155
	global_load_dword v21, v[20:21], off offset:176
	s_waitcnt vmcnt(1)
	v_ashrrev_i32_e32 v156, v32, v31
	global_load_dwordx2 v[18:19], v[18:19], off offset:168
	v_lshlrev_b32_e32 v157, 4, v156
	v_lshlrev_b32_e32 v158, 11, v156
	;; [unrolled: 1-line block ×4, first 2 shown]
	v_and_b32_e32 v159, 0x100000, v159
	v_and_b32_e32 v156, 0x10000000, v156
	;; [unrolled: 1-line block ×4, first 2 shown]
	v_or3_b32 v154, v156, v154, v159
	v_or3_b32 v154, v154, v157, v158
	v_mov_b32_e32 v156, v51
	v_dot4c_i32_i8_e32 v156, v154, v46
	v_cvt_f32_f16_e32 v154, v30
	v_cvt_f32_f16_sdwa v157, v30 dst_sel:DWORD dst_unused:UNUSED_PAD src0_sel:WORD_1
	v_ashrrev_i32_e32 v31, v144, v31
	v_lshrrev_b32_e32 v155, 4, v155
	v_mul_f32_e32 v30, v12, v154
	v_mul_f32_e32 v154, v13, v157
	v_lshlrev_b32_e32 v157, 4, v31
	v_lshlrev_b32_e32 v158, 11, v31
	;; [unrolled: 1-line block ×4, first 2 shown]
	v_and_b32_e32 v155, 0xf0f0f0f, v155
	v_and_b32_e32 v159, 0x100000, v159
	;; [unrolled: 1-line block ×5, first 2 shown]
	v_or3_b32 v31, v31, v155, v159
	v_or3_b32 v31, v31, v157, v158
	v_mov_b32_e32 v155, v51
	v_dot4c_i32_i8_e32 v155, v31, v47
	v_cvt_f32_i32_e32 v157, v156
	v_mul_f32_e32 v154, 0x3e000000, v154
	s_waitcnt vmcnt(1)
	v_and_b32_e32 v20, 0xf0f0f0f, v21
	v_cvt_f32_i32_e32 v156, v155
	v_lshrrev_b32_e32 v21, 4, v21
	v_and_b32_e32 v21, 0xf0f0f0f, v21
	v_pk_fma_f32 v[30:31], v[30:31], v[156:157], v[154:155] op_sel_hi:[0,1,0]
	v_add_f32_e32 v29, v29, v31
	v_add_f32_e32 v29, v30, v29
	s_waitcnt vmcnt(0)
	v_ashrrev_i32_e32 v30, v32, v19
	v_lshlrev_b32_e32 v31, 4, v30
	v_lshlrev_b32_e32 v154, 11, v30
	;; [unrolled: 1-line block ×4, first 2 shown]
	v_and_b32_e32 v155, 0x100000, v155
	v_and_b32_e32 v30, 0x10000000, v30
	;; [unrolled: 1-line block ×4, first 2 shown]
	v_or3_b32 v20, v30, v20, v155
	v_or3_b32 v20, v20, v31, v154
	v_mov_b32_e32 v30, v51
	v_dot4c_i32_i8_e32 v30, v20, v48
	v_cvt_f32_f16_e32 v20, v18
	v_cvt_f32_f16_sdwa v31, v18 dst_sel:DWORD dst_unused:UNUSED_PAD src0_sel:WORD_1
	v_ashrrev_i32_e32 v19, v144, v19
	v_lshlrev_b32_e32 v154, 11, v19
	v_mul_f32_e32 v18, v14, v20
	v_mul_f32_e32 v20, v15, v31
	v_lshlrev_b32_e32 v31, 4, v19
	v_lshlrev_b32_e32 v155, 18, v19
	;; [unrolled: 1-line block ×3, first 2 shown]
	v_and_b32_e32 v155, 0x100000, v155
	v_and_b32_e32 v19, 0x10000000, v19
	;; [unrolled: 1-line block ×4, first 2 shown]
	v_or3_b32 v19, v19, v21, v155
	v_or3_b32 v19, v19, v31, v154
	v_mov_b32_e32 v21, v51
	v_dot4c_i32_i8_e32 v21, v19, v49
	v_cvt_f32_i32_e32 v31, v30
	v_mul_f32_e32 v20, 0x3e000000, v20
	s_nop 0
	v_cvt_f32_i32_e32 v30, v21
	v_pk_fma_f32 v[18:19], v[18:19], v[30:31], v[20:21] op_sel_hi:[0,1,0]
	v_add_f32_e32 v19, v29, v19
	v_add_f32_e32 v18, v18, v19
	ds_bpermute_b32 v19, v138, v18
	s_waitcnt lgkmcnt(0)
	v_add_f32_e32 v18, v18, v19
	ds_bpermute_b32 v19, v139, v18
	s_waitcnt lgkmcnt(0)
	v_add_f32_e32 v18, v18, v19
	v_cmp_nlt_f32_e64 s[38:39], |v18|, s46
                                        ; implicit-def: $vgpr19
	s_and_saveexec_b64 s[52:53], s[38:39]
	s_xor_b64 s[38:39], exec, s[52:53]
	s_cbranch_execz .LBB27_29
; %bb.28:                               ;   in Loop: Header=BB27_15 Depth=1
	v_add_f32_e64 v19, |v18|, |v18|
	v_mul_f32_e32 v20, 0x3fb8aa3b, v19
	v_rndne_f32_e32 v21, v20
	v_sub_f32_e32 v29, v20, v21
	v_fma_f32 v20, v19, s47, -v20
	v_fmac_f32_e32 v20, 0x32a5705f, v19
	v_add_f32_e32 v20, v29, v20
	v_cvt_i32_f32_e32 v21, v21
	v_exp_f32_e32 v20, v20
	v_cmp_ngt_f32_e32 vcc, s48, v19
	v_ldexp_f32 v20, v20, v21
	s_nop 0
	v_cndmask_b32_e32 v20, 0, v20, vcc
	v_cmp_nlt_f32_e32 vcc, s49, v19
	s_nop 1
	v_cndmask_b32_e32 v19, v151, v20, vcc
	v_add_f32_e32 v19, 1.0, v19
	v_rcp_f32_e32 v19, v19
	s_nop 0
	v_fma_f32 v19, v19, -2.0, 1.0
.LBB27_29:                              ;   in Loop: Header=BB27_15 Depth=1
	s_andn2_saveexec_b64 s[38:39], s[38:39]
; %bb.30:                               ;   in Loop: Header=BB27_15 Depth=1
	v_mul_f32_e32 v19, v18, v18
	v_fmamk_f32 v20, v19, 0xbbbac73d, v150
	v_fmaak_f32 v20, v19, v20, 0xbd5c1c4e
	v_fmaak_f32 v20, v19, v20, 0x3e088382
	v_fmaak_f32 v20, v19, v20, 0xbeaaaa99
	v_mul_f32_e64 v20, |v18|, v20
	v_fma_f32 v19, v19, v20, |v18|
; %bb.31:                               ;   in Loop: Header=BB27_15 Depth=1
	s_or_b64 exec, exec, s[38:39]
	v_bfi_b32 v18, s50, v19, v18
	s_and_b64 vcc, exec, s[12:13]
	v_mul_f32_e32 v29, s45, v18
	s_cbranch_vccnz .LBB27_33
; %bb.32:                               ;   in Loop: Header=BB27_15 Depth=1
	global_load_ushort v18, v[16:17], off offset:4
	s_waitcnt vmcnt(0)
	v_fma_mix_f32 v29, v133, v18, v29 op_sel_hi:[0,1,0]
.LBB27_33:                              ;   in Loop: Header=BB27_15 Depth=1
	v_lshl_add_u64 v[18:19], s[36:37], 0, v[58:59]
	v_lshl_add_u64 v[20:21], v[18:19], 0, v[32:33]
	global_load_dword v154, v[20:21], off offset:8
	global_load_dwordx2 v[30:31], v[18:19], off
	s_waitcnt vmcnt(1)
	v_and_b32_e32 v155, 0xf0f0f0f, v154
	s_waitcnt vmcnt(0)
	v_ashrrev_i32_e32 v156, v32, v31
	v_lshlrev_b32_e32 v157, 4, v156
	v_lshlrev_b32_e32 v158, 11, v156
	v_lshlrev_b32_e32 v159, 18, v156
	v_lshlrev_b32_e32 v156, 25, v156
	v_and_b32_e32 v159, 0x100000, v159
	v_and_b32_e32 v156, 0x10000000, v156
	;; [unrolled: 1-line block ×4, first 2 shown]
	v_or3_b32 v155, v156, v155, v159
	v_ashrrev_i32_e32 v31, v144, v31
	v_or3_b32 v155, v155, v157, v158
	v_lshrrev_b32_e32 v154, 4, v154
	v_lshlrev_b32_e32 v157, 4, v31
	v_lshlrev_b32_e32 v158, 11, v31
	;; [unrolled: 1-line block ×4, first 2 shown]
	v_mov_b32_e32 v156, v51
	v_and_b32_e32 v154, 0xf0f0f0f, v154
	v_and_b32_e32 v159, 0x100000, v159
	v_and_b32_e32 v31, 0x10000000, v31
	v_dot4c_i32_i8_e32 v156, v155, v34
	v_cvt_f32_f16_e32 v155, v30
	v_cvt_f32_f16_sdwa v30, v30 dst_sel:DWORD dst_unused:UNUSED_PAD src0_sel:WORD_1
	v_and_b32_e32 v157, 16, v157
	v_and_b32_e32 v158, 0x1000, v158
	v_or3_b32 v31, v31, v154, v159
	v_or3_b32 v31, v31, v157, v158
	v_mov_b32_e32 v154, v51
	v_cvt_f32_i32_e32 v156, v156
	v_dot4c_i32_i8_e32 v154, v31, v35
	v_mul_f32_e32 v30, v1, v30
	v_mul_f32_e32 v155, v0, v155
	;; [unrolled: 1-line block ×3, first 2 shown]
	v_cvt_f32_i32_e32 v31, v154
	v_fma_f32 v156, v155, v156, v30
	v_add_f32_e32 v156, 0, v156
	v_fmac_f32_e32 v30, v155, v31
	v_add_f32_e32 v154, v30, v156
	global_load_dword v155, v[20:21], off offset:32
	global_load_dwordx2 v[30:31], v[18:19], off offset:24
	s_waitcnt vmcnt(1)
	v_and_b32_e32 v156, 0xf0f0f0f, v155
	s_waitcnt vmcnt(0)
	v_ashrrev_i32_e32 v157, v32, v31
	v_lshlrev_b32_e32 v158, 4, v157
	v_lshlrev_b32_e32 v159, 11, v157
	;; [unrolled: 1-line block ×4, first 2 shown]
	v_and_b32_e32 v160, 0x100000, v160
	v_and_b32_e32 v157, 0x10000000, v157
	;; [unrolled: 1-line block ×4, first 2 shown]
	v_or3_b32 v156, v157, v156, v160
	v_or3_b32 v156, v156, v158, v159
	v_mov_b32_e32 v157, v51
	v_dot4c_i32_i8_e32 v157, v156, v36
	v_cvt_f32_f16_e32 v156, v30
	v_cvt_f32_f16_sdwa v30, v30 dst_sel:DWORD dst_unused:UNUSED_PAD src0_sel:WORD_1
	v_ashrrev_i32_e32 v31, v144, v31
	v_cvt_f32_i32_e32 v157, v157
	v_mul_f32_e32 v156, v2, v156
	v_mul_f32_e32 v30, v3, v30
	;; [unrolled: 1-line block ×3, first 2 shown]
	v_fma_f32 v157, v156, v157, v30
	v_add_f32_e32 v154, v154, v157
	v_lshrrev_b32_e32 v155, 4, v155
	v_lshlrev_b32_e32 v157, 4, v31
	v_lshlrev_b32_e32 v158, 11, v31
	;; [unrolled: 1-line block ×4, first 2 shown]
	v_and_b32_e32 v155, 0xf0f0f0f, v155
	v_and_b32_e32 v159, 0x100000, v159
	;; [unrolled: 1-line block ×5, first 2 shown]
	v_or3_b32 v31, v31, v155, v159
	v_or3_b32 v31, v31, v157, v158
	v_mov_b32_e32 v155, v51
	v_dot4c_i32_i8_e32 v155, v31, v37
	s_nop 2
	v_cvt_f32_i32_e32 v31, v155
	global_load_dword v155, v[20:21], off offset:56
	v_fmac_f32_e32 v30, v156, v31
	v_add_f32_e32 v154, v30, v154
	global_load_dwordx2 v[30:31], v[18:19], off offset:48
	s_waitcnt vmcnt(1)
	v_and_b32_e32 v156, 0xf0f0f0f, v155
	v_lshrrev_b32_e32 v155, 4, v155
	v_and_b32_e32 v155, 0xf0f0f0f, v155
	s_waitcnt vmcnt(0)
	v_ashrrev_i32_e32 v157, v32, v31
	v_lshlrev_b32_e32 v158, 4, v157
	v_lshlrev_b32_e32 v159, 11, v157
	;; [unrolled: 1-line block ×4, first 2 shown]
	v_and_b32_e32 v160, 0x100000, v160
	v_and_b32_e32 v157, 0x10000000, v157
	;; [unrolled: 1-line block ×4, first 2 shown]
	v_or3_b32 v156, v157, v156, v160
	v_or3_b32 v156, v156, v158, v159
	v_mov_b32_e32 v157, v51
	v_dot4c_i32_i8_e32 v157, v156, v38
	v_cvt_f32_f16_e32 v156, v30
	v_cvt_f32_f16_sdwa v30, v30 dst_sel:DWORD dst_unused:UNUSED_PAD src0_sel:WORD_1
	v_ashrrev_i32_e32 v31, v144, v31
	v_cvt_f32_i32_e32 v157, v157
	v_mul_f32_e32 v156, v4, v156
	v_mul_f32_e32 v30, v5, v30
	;; [unrolled: 1-line block ×3, first 2 shown]
	v_fma_f32 v157, v156, v157, v30
	v_add_f32_e32 v154, v154, v157
	v_lshlrev_b32_e32 v157, 4, v31
	v_lshlrev_b32_e32 v158, 11, v31
	;; [unrolled: 1-line block ×4, first 2 shown]
	v_and_b32_e32 v159, 0x100000, v159
	v_and_b32_e32 v31, 0x10000000, v31
	;; [unrolled: 1-line block ×4, first 2 shown]
	v_or3_b32 v31, v31, v155, v159
	v_or3_b32 v31, v31, v157, v158
	v_mov_b32_e32 v155, v51
	v_dot4c_i32_i8_e32 v155, v31, v39
	s_nop 2
	v_cvt_f32_i32_e32 v31, v155
	v_fmac_f32_e32 v30, v156, v31
	v_add_f32_e32 v155, v30, v154
	global_load_dword v156, v[20:21], off offset:80
	global_load_dwordx2 v[30:31], v[18:19], off offset:72
	s_waitcnt vmcnt(1)
	v_and_b32_e32 v154, 0xf0f0f0f, v156
	s_waitcnt vmcnt(0)
	v_ashrrev_i32_e32 v157, v32, v31
	v_lshlrev_b32_e32 v158, 4, v157
	v_lshlrev_b32_e32 v159, 11, v157
	v_lshlrev_b32_e32 v160, 18, v157
	v_lshlrev_b32_e32 v157, 25, v157
	v_and_b32_e32 v160, 0x100000, v160
	v_and_b32_e32 v157, 0x10000000, v157
	v_and_b32_e32 v158, 16, v158
	v_and_b32_e32 v159, 0x1000, v159
	v_or3_b32 v154, v157, v154, v160
	v_or3_b32 v154, v154, v158, v159
	v_mov_b32_e32 v157, v51
	v_dot4c_i32_i8_e32 v157, v154, v40
	v_cvt_f32_f16_e32 v154, v30
	v_cvt_f32_f16_sdwa v158, v30 dst_sel:DWORD dst_unused:UNUSED_PAD src0_sel:WORD_1
	v_ashrrev_i32_e32 v31, v144, v31
	v_lshrrev_b32_e32 v156, 4, v156
	v_mul_f32_e32 v30, v6, v154
	v_mul_f32_e32 v154, v7, v158
	v_lshlrev_b32_e32 v158, 4, v31
	v_lshlrev_b32_e32 v159, 11, v31
	v_lshlrev_b32_e32 v160, 18, v31
	v_lshlrev_b32_e32 v31, 25, v31
	v_and_b32_e32 v156, 0xf0f0f0f, v156
	v_and_b32_e32 v160, 0x100000, v160
	v_and_b32_e32 v31, 0x10000000, v31
	v_and_b32_e32 v158, 16, v158
	v_and_b32_e32 v159, 0x1000, v159
	v_or3_b32 v31, v31, v156, v160
	v_or3_b32 v31, v31, v158, v159
	v_mov_b32_e32 v156, v51
	v_dot4c_i32_i8_e32 v156, v31, v41
	v_cvt_f32_i32_e32 v157, v157
	v_mul_f32_e32 v154, 0x3e000000, v154
	s_nop 0
	v_cvt_f32_i32_e32 v156, v156
	v_pk_fma_f32 v[30:31], v[30:31], v[156:157], v[154:155] op_sel_hi:[0,1,0]
	v_add_f32_e32 v31, v155, v31
	v_add_f32_e32 v155, v30, v31
	global_load_dword v156, v[20:21], off offset:104
	global_load_dwordx2 v[30:31], v[18:19], off offset:96
	s_waitcnt vmcnt(1)
	v_and_b32_e32 v154, 0xf0f0f0f, v156
	s_waitcnt vmcnt(0)
	v_ashrrev_i32_e32 v157, v32, v31
	v_lshlrev_b32_e32 v158, 4, v157
	v_lshlrev_b32_e32 v159, 11, v157
	v_lshlrev_b32_e32 v160, 18, v157
	v_lshlrev_b32_e32 v157, 25, v157
	v_and_b32_e32 v160, 0x100000, v160
	v_and_b32_e32 v157, 0x10000000, v157
	v_and_b32_e32 v158, 16, v158
	v_and_b32_e32 v159, 0x1000, v159
	v_or3_b32 v154, v157, v154, v160
	v_or3_b32 v154, v154, v158, v159
	v_mov_b32_e32 v157, v51
	v_dot4c_i32_i8_e32 v157, v154, v42
	v_cvt_f32_f16_e32 v154, v30
	v_cvt_f32_f16_sdwa v158, v30 dst_sel:DWORD dst_unused:UNUSED_PAD src0_sel:WORD_1
	v_ashrrev_i32_e32 v31, v144, v31
	v_lshrrev_b32_e32 v156, 4, v156
	v_mul_f32_e32 v30, v8, v154
	v_mul_f32_e32 v154, v9, v158
	v_lshlrev_b32_e32 v158, 4, v31
	v_lshlrev_b32_e32 v159, 11, v31
	v_lshlrev_b32_e32 v160, 18, v31
	v_lshlrev_b32_e32 v31, 25, v31
	v_and_b32_e32 v156, 0xf0f0f0f, v156
	v_and_b32_e32 v160, 0x100000, v160
	v_and_b32_e32 v31, 0x10000000, v31
	v_and_b32_e32 v158, 16, v158
	v_and_b32_e32 v159, 0x1000, v159
	v_or3_b32 v31, v31, v156, v160
	v_or3_b32 v31, v31, v158, v159
	v_mov_b32_e32 v156, v51
	v_dot4c_i32_i8_e32 v156, v31, v43
	v_cvt_f32_i32_e32 v157, v157
	v_mul_f32_e32 v154, 0x3e000000, v154
	s_nop 0
	v_cvt_f32_i32_e32 v156, v156
	v_pk_fma_f32 v[30:31], v[30:31], v[156:157], v[154:155] op_sel_hi:[0,1,0]
	v_add_f32_e32 v31, v155, v31
	;; [unrolled: 44-line block ×3, first 2 shown]
	v_add_f32_e32 v155, v30, v31
	global_load_dword v156, v[20:21], off offset:152
	global_load_dwordx2 v[30:31], v[18:19], off offset:144
	s_waitcnt vmcnt(1)
	v_and_b32_e32 v154, 0xf0f0f0f, v156
	global_load_dword v21, v[20:21], off offset:176
	s_waitcnt vmcnt(1)
	v_ashrrev_i32_e32 v157, v32, v31
	global_load_dwordx2 v[18:19], v[18:19], off offset:168
	v_lshlrev_b32_e32 v158, 4, v157
	v_lshlrev_b32_e32 v159, 11, v157
	v_lshlrev_b32_e32 v160, 18, v157
	v_lshlrev_b32_e32 v157, 25, v157
	v_and_b32_e32 v160, 0x100000, v160
	v_and_b32_e32 v157, 0x10000000, v157
	;; [unrolled: 1-line block ×4, first 2 shown]
	v_or3_b32 v154, v157, v154, v160
	v_or3_b32 v154, v154, v158, v159
	v_mov_b32_e32 v157, v51
	v_dot4c_i32_i8_e32 v157, v154, v46
	v_cvt_f32_f16_e32 v154, v30
	v_cvt_f32_f16_sdwa v158, v30 dst_sel:DWORD dst_unused:UNUSED_PAD src0_sel:WORD_1
	v_ashrrev_i32_e32 v31, v144, v31
	v_lshrrev_b32_e32 v156, 4, v156
	v_mul_f32_e32 v30, v12, v154
	v_mul_f32_e32 v154, v13, v158
	v_lshlrev_b32_e32 v158, 4, v31
	v_lshlrev_b32_e32 v159, 11, v31
	;; [unrolled: 1-line block ×4, first 2 shown]
	v_and_b32_e32 v156, 0xf0f0f0f, v156
	v_and_b32_e32 v160, 0x100000, v160
	;; [unrolled: 1-line block ×5, first 2 shown]
	v_or3_b32 v31, v31, v156, v160
	v_or3_b32 v31, v31, v158, v159
	v_mov_b32_e32 v156, v51
	v_dot4c_i32_i8_e32 v156, v31, v47
	v_cvt_f32_i32_e32 v157, v157
	v_mul_f32_e32 v154, 0x3e000000, v154
	s_waitcnt vmcnt(1)
	v_and_b32_e32 v20, 0xf0f0f0f, v21
	v_cvt_f32_i32_e32 v156, v156
	v_lshrrev_b32_e32 v21, 4, v21
	v_and_b32_e32 v21, 0xf0f0f0f, v21
	v_pk_fma_f32 v[30:31], v[30:31], v[156:157], v[154:155] op_sel_hi:[0,1,0]
	v_add_f32_e32 v31, v155, v31
	v_add_f32_e32 v154, v30, v31
	s_waitcnt vmcnt(0)
	v_ashrrev_i32_e32 v30, v32, v19
	v_lshlrev_b32_e32 v31, 4, v30
	v_lshlrev_b32_e32 v155, 11, v30
	;; [unrolled: 1-line block ×4, first 2 shown]
	v_and_b32_e32 v156, 0x100000, v156
	v_and_b32_e32 v30, 0x10000000, v30
	;; [unrolled: 1-line block ×4, first 2 shown]
	v_or3_b32 v20, v30, v20, v156
	v_or3_b32 v20, v20, v31, v155
	v_mov_b32_e32 v30, v51
	v_dot4c_i32_i8_e32 v30, v20, v48
	v_cvt_f32_f16_e32 v20, v18
	v_cvt_f32_f16_sdwa v31, v18 dst_sel:DWORD dst_unused:UNUSED_PAD src0_sel:WORD_1
	v_ashrrev_i32_e32 v19, v144, v19
	v_lshlrev_b32_e32 v155, 11, v19
	v_mul_f32_e32 v18, v14, v20
	v_mul_f32_e32 v20, v15, v31
	v_lshlrev_b32_e32 v31, 4, v19
	v_lshlrev_b32_e32 v156, 18, v19
	;; [unrolled: 1-line block ×3, first 2 shown]
	v_and_b32_e32 v156, 0x100000, v156
	v_and_b32_e32 v19, 0x10000000, v19
	;; [unrolled: 1-line block ×4, first 2 shown]
	v_or3_b32 v19, v19, v21, v156
	v_or3_b32 v19, v19, v31, v155
	v_mov_b32_e32 v21, v51
	v_dot4c_i32_i8_e32 v21, v19, v49
	v_cvt_f32_i32_e32 v31, v30
	v_mul_f32_e32 v20, 0x3e000000, v20
	s_nop 0
	v_cvt_f32_i32_e32 v30, v21
	v_pk_fma_f32 v[18:19], v[18:19], v[30:31], v[20:21] op_sel_hi:[0,1,0]
	v_add_f32_e32 v19, v154, v19
	v_add_f32_e32 v18, v18, v19
	ds_bpermute_b32 v19, v138, v18
	s_waitcnt lgkmcnt(0)
	v_add_f32_e32 v18, v18, v19
	ds_bpermute_b32 v19, v139, v18
	s_waitcnt lgkmcnt(0)
	v_add_f32_e32 v18, v18, v19
	v_cmp_nlt_f32_e64 s[38:39], |v18|, s46
                                        ; implicit-def: $vgpr19
	s_and_saveexec_b64 s[52:53], s[38:39]
	s_xor_b64 s[38:39], exec, s[52:53]
	s_cbranch_execz .LBB27_35
; %bb.34:                               ;   in Loop: Header=BB27_15 Depth=1
	v_add_f32_e64 v19, |v18|, |v18|
	v_mul_f32_e32 v20, 0x3fb8aa3b, v19
	v_rndne_f32_e32 v21, v20
	v_sub_f32_e32 v30, v20, v21
	v_fma_f32 v20, v19, s47, -v20
	v_fmac_f32_e32 v20, 0x32a5705f, v19
	v_add_f32_e32 v20, v30, v20
	v_cvt_i32_f32_e32 v21, v21
	v_exp_f32_e32 v20, v20
	v_cmp_ngt_f32_e32 vcc, s48, v19
	v_ldexp_f32 v20, v20, v21
	s_nop 0
	v_cndmask_b32_e32 v20, 0, v20, vcc
	v_cmp_nlt_f32_e32 vcc, s49, v19
	s_nop 1
	v_cndmask_b32_e32 v19, v151, v20, vcc
	v_add_f32_e32 v19, 1.0, v19
	v_rcp_f32_e32 v19, v19
	s_nop 0
	v_fma_f32 v19, v19, -2.0, 1.0
.LBB27_35:                              ;   in Loop: Header=BB27_15 Depth=1
	s_andn2_saveexec_b64 s[38:39], s[38:39]
; %bb.36:                               ;   in Loop: Header=BB27_15 Depth=1
	v_mul_f32_e32 v19, v18, v18
	v_fmamk_f32 v20, v19, 0xbbbac73d, v150
	v_fmaak_f32 v20, v19, v20, 0xbd5c1c4e
	v_fmaak_f32 v20, v19, v20, 0x3e088382
	;; [unrolled: 1-line block ×3, first 2 shown]
	v_mul_f32_e64 v20, |v18|, v20
	v_fma_f32 v19, v19, v20, |v18|
; %bb.37:                               ;   in Loop: Header=BB27_15 Depth=1
	s_or_b64 exec, exec, s[38:39]
	v_bfi_b32 v18, s50, v19, v18
	s_and_b64 vcc, exec, s[12:13]
	v_mul_f32_e32 v18, s45, v18
	s_cbranch_vccnz .LBB27_39
; %bb.38:                               ;   in Loop: Header=BB27_15 Depth=1
	global_load_ushort v16, v[16:17], off offset:6
	s_waitcnt vmcnt(0)
	v_fma_mix_f32 v18, v133, v16, v18 op_sel_hi:[0,1,0]
.LBB27_39:                              ;   in Loop: Header=BB27_15 Depth=1
	v_add_f32_e32 v16, 0x40051340, v27
	v_add_f32_e32 v19, 0x40051340, v28
	v_max3_f32 v16, v26, v16, v19
	v_add_f32_e32 v19, 0x40051340, v29
	v_add_f32_e32 v20, 0x40051340, v18
	v_max3_f32 v16, v16, v19, v20
	ds_bpermute_b32 v19, v140, v16
	v_cndmask_b32_e64 v17, v153, v27, s[6:7]
	v_cndmask_b32_e64 v17, v17, v28, s[8:9]
	;; [unrolled: 1-line block ×3, first 2 shown]
	v_lshl_add_u64 v[156:157], s[20:21], 0, v[60:61]
	s_waitcnt lgkmcnt(0)
	v_max_f32_e32 v19, v19, v19
	v_max_f32_e32 v16, v16, v19
	ds_bpermute_b32 v19, v141, v16
	v_mad_u64_u32 v[158:159], s[12:13], v130, 24, v[156:157]
	v_lshl_add_u64 v[160:161], v[158:159], 0, v[62:63]
	v_mad_u64_u32 v[156:157], s[12:13], v128, 24, v[156:157]
	s_waitcnt lgkmcnt(0)
	v_max_f32_e32 v19, v19, v19
	v_max_f32_e32 v16, v16, v19
	ds_bpermute_b32 v19, v142, v16
	s_add_i32 s16, s26, s16
	s_add_u32 s36, s36, s17
	s_addc_u32 s37, s37, 0
	s_waitcnt lgkmcnt(0)
	v_max_f32_e32 v19, v19, v19
	v_max_f32_e32 v154, v16, v19
	v_cndmask_b32_e64 v16, v17, v18, s[4:5]
	v_sub_f32_e32 v17, v26, v154
	v_mul_f32_e32 v18, 0x3fb8aa3b, v17
	v_fma_f32 v19, v17, s47, -v18
	v_rndne_f32_e32 v20, v18
	v_fmac_f32_e32 v19, 0x32a5705f, v17
	v_sub_f32_e32 v18, v18, v20
	v_add_f32_e32 v18, v18, v19
	v_exp_f32_e32 v18, v18
	v_cvt_i32_f32_e32 v19, v20
	v_cmp_ngt_f32_e32 vcc, s48, v17
	v_sub_f32_e32 v16, v16, v154
	v_ldexp_f32 v18, v18, v19
	v_cndmask_b32_e32 v18, 0, v18, vcc
	v_cmp_nlt_f32_e32 vcc, s49, v17
	s_nop 1
	v_cndmask_b32_e32 v17, v151, v18, vcc
	v_mul_f32_e32 v18, 0x3fb8aa3b, v16
	v_fma_f32 v19, v16, s47, -v18
	v_rndne_f32_e32 v20, v18
	v_fmac_f32_e32 v19, 0x32a5705f, v16
	v_sub_f32_e32 v18, v18, v20
	v_add_f32_e32 v18, v18, v19
	v_exp_f32_e32 v18, v18
	v_cvt_i32_f32_e32 v19, v20
	v_cmp_ngt_f32_e32 vcc, s48, v16
	v_ldexp_f32 v18, v18, v19
	s_nop 0
	v_cndmask_b32_e32 v18, 0, v18, vcc
	v_cmp_nlt_f32_e32 vcc, s49, v16
	v_cvt_f16_f32_e32 v16, v17
	v_mul_u32_u24_e32 v16, 0x10001, v16
	v_cndmask_b32_e32 v153, v151, v18, vcc
	v_pk_mul_f16 v155, v22, v16
	v_pk_mul_f16 v162, v23, v16
	;; [unrolled: 1-line block ×4, first 2 shown]
	v_cvt_f16_f32_e32 v16, v153
	v_fma_f32 v137, v137, v17, v153
	ds_write_b16 v135, v16
	ds_read_b128 v[28:31], v143
	ds_read_b128 v[24:27], v143 offset:16
	ds_read_b128 v[20:23], v143 offset:32
	;; [unrolled: 1-line block ×3, first 2 shown]
	global_load_dword v160, v[160:161], off offset:8
	s_waitcnt lgkmcnt(3)
	v_mul_u32_u24_sdwa v165, v28, s51 dst_sel:DWORD dst_unused:UNUSED_PAD src0_sel:WORD_0 src1_sel:DWORD
	global_load_dwordx2 v[158:159], v[158:159], off
	v_mul_u32_u24_sdwa v28, v28, s51 dst_sel:DWORD dst_unused:UNUSED_PAD src0_sel:WORD_1 src1_sel:DWORD
	s_waitcnt vmcnt(1)
	v_ashrrev_i32_e32 v160, v146, v160
	v_and_b32_e32 v160, 0xf0f0f0f, v160
	s_waitcnt vmcnt(0)
	v_lshrrev_b32_e32 v161, v145, v159
	v_lshlrev_b32_e32 v161, 4, v161
	v_and_or_b32 v160, v161, 16, v160
	v_lshrrev_b32_e32 v161, v147, v159
	v_lshrrev_b32_e32 v166, v148, v159
	;; [unrolled: 1-line block ×3, first 2 shown]
	v_lshlrev_b32_e32 v161, 12, v161
	v_lshlrev_b32_e32 v166, 20, v166
	;; [unrolled: 1-line block ×3, first 2 shown]
	v_and_or_b32 v161, v161, s44, v160
	v_and_b32_e32 v166, 0x100000, v166
	v_and_b32_e32 v159, 0x10000000, v159
	v_or3_b32 v159, v166, v159, v161
	v_lshrrev_b32_e32 v161, 8, v161
	v_and_b32_e32 v160, 31, v160
	v_and_b32_e32 v161, 31, v161
	v_cvt_f16_u16_e32 v160, v160
	v_cvt_f16_u16_e32 v161, v161
	v_pack_b32_f16 v160, v160, v161
	v_and_b32_sdwa v161, v159, v152 dst_sel:DWORD dst_unused:UNUSED_PAD src0_sel:WORD_1 src1_sel:DWORD
	v_cvt_f16_u16_sdwa v159, v159 dst_sel:DWORD dst_unused:UNUSED_PAD src0_sel:BYTE_3
	v_cvt_f16_u16_e32 v161, v161
	v_mul_u32_u24_sdwa v166, v158, s51 dst_sel:DWORD dst_unused:UNUSED_PAD src0_sel:WORD_0 src1_sel:DWORD
	v_mul_u32_u24_sdwa v158, v158, s51 dst_sel:DWORD dst_unused:UNUSED_PAD src0_sel:WORD_1 src1_sel:DWORD
	v_pack_b32_f16 v159, v161, v159
	v_pk_fma_f16 v160, v160, v166, v158
	v_pk_fma_f16 v158, v159, v166, v158
	v_pk_fma_f16 v155, v160, v165, v155
	v_pk_fma_f16 v162, v158, v165, v162
	v_lshl_add_u64 v[158:159], v[156:157], 0, v[64:65]
	global_load_dword v158, v[158:159], off offset:8
	s_nop 0
	global_load_dwordx2 v[156:157], v[156:157], off
	s_waitcnt vmcnt(1)
	v_ashrrev_i32_e32 v158, v146, v158
	v_and_b32_e32 v158, 0xf0f0f0f, v158
	s_waitcnt vmcnt(0)
	v_lshrrev_b32_e32 v159, v145, v157
	v_lshlrev_b32_e32 v159, 4, v159
	v_and_or_b32 v158, v159, 16, v158
	v_lshrrev_b32_e32 v159, v147, v157
	v_lshrrev_b32_e32 v160, v148, v157
	;; [unrolled: 1-line block ×3, first 2 shown]
	v_lshlrev_b32_e32 v159, 12, v159
	v_lshlrev_b32_e32 v160, 20, v160
	;; [unrolled: 1-line block ×3, first 2 shown]
	v_and_or_b32 v159, v159, s44, v158
	v_and_b32_e32 v160, 0x100000, v160
	v_and_b32_e32 v157, 0x10000000, v157
	v_or3_b32 v157, v160, v157, v159
	v_lshrrev_b32_e32 v159, 8, v159
	v_and_b32_e32 v158, 31, v158
	v_and_b32_e32 v159, 31, v159
	v_cvt_f16_u16_e32 v158, v158
	v_cvt_f16_u16_e32 v159, v159
	v_pack_b32_f16 v158, v158, v159
	v_and_b32_sdwa v159, v157, v152 dst_sel:DWORD dst_unused:UNUSED_PAD src0_sel:WORD_1 src1_sel:DWORD
	v_cvt_f16_u16_sdwa v157, v157 dst_sel:DWORD dst_unused:UNUSED_PAD src0_sel:BYTE_3
	v_cvt_f16_u16_e32 v159, v159
	v_mul_u32_u24_sdwa v160, v156, s51 dst_sel:DWORD dst_unused:UNUSED_PAD src0_sel:WORD_0 src1_sel:DWORD
	v_mul_u32_u24_sdwa v156, v156, s51 dst_sel:DWORD dst_unused:UNUSED_PAD src0_sel:WORD_1 src1_sel:DWORD
	v_pack_b32_f16 v157, v159, v157
	v_pk_fma_f16 v158, v158, v160, v156
	v_pk_fma_f16 v156, v157, v160, v156
	;; [unrolled: 1-line block ×4, first 2 shown]
	v_lshl_add_u64 v[156:157], s[20:21], 0, v[66:67]
	v_mad_u64_u32 v[158:159], s[12:13], v130, 24, v[156:157]
	v_lshl_add_u64 v[160:161], v[158:159], 0, v[62:63]
	global_load_dword v160, v[160:161], off offset:8
	v_mad_u64_u32 v[156:157], s[12:13], v128, 24, v[156:157]
	global_load_dwordx2 v[158:159], v[158:159], off
	s_waitcnt vmcnt(1)
	v_ashrrev_i32_e32 v160, v146, v160
	v_and_b32_e32 v160, 0xf0f0f0f, v160
	s_waitcnt vmcnt(0)
	v_lshrrev_b32_e32 v161, v145, v159
	v_lshlrev_b32_e32 v161, 4, v161
	v_and_or_b32 v160, v161, 16, v160
	v_lshrrev_b32_e32 v161, v147, v159
	v_lshrrev_b32_e32 v165, v148, v159
	;; [unrolled: 1-line block ×3, first 2 shown]
	v_lshlrev_b32_e32 v161, 12, v161
	v_lshlrev_b32_e32 v165, 20, v165
	;; [unrolled: 1-line block ×3, first 2 shown]
	v_and_or_b32 v161, v161, s44, v160
	v_and_b32_e32 v165, 0x100000, v165
	v_and_b32_e32 v159, 0x10000000, v159
	v_or3_b32 v159, v165, v159, v161
	v_lshrrev_b32_e32 v161, 8, v161
	v_and_b32_e32 v160, 31, v160
	v_and_b32_e32 v161, 31, v161
	v_cvt_f16_u16_e32 v160, v160
	v_cvt_f16_u16_e32 v161, v161
	v_pack_b32_f16 v160, v160, v161
	v_and_b32_sdwa v161, v159, v152 dst_sel:DWORD dst_unused:UNUSED_PAD src0_sel:WORD_1 src1_sel:DWORD
	v_cvt_f16_u16_sdwa v159, v159 dst_sel:DWORD dst_unused:UNUSED_PAD src0_sel:BYTE_3
	v_cvt_f16_u16_e32 v161, v161
	v_mul_u32_u24_sdwa v165, v158, s51 dst_sel:DWORD dst_unused:UNUSED_PAD src0_sel:WORD_0 src1_sel:DWORD
	v_mul_u32_u24_sdwa v158, v158, s51 dst_sel:DWORD dst_unused:UNUSED_PAD src0_sel:WORD_1 src1_sel:DWORD
	v_pack_b32_f16 v159, v161, v159
	v_pk_fma_f16 v160, v160, v165, v158
	v_pk_fma_f16 v158, v159, v165, v158
	;; [unrolled: 1-line block ×4, first 2 shown]
	v_lshl_add_u64 v[158:159], v[156:157], 0, v[64:65]
	global_load_dword v158, v[158:159], off offset:8
	s_nop 0
	global_load_dwordx2 v[156:157], v[156:157], off
	s_waitcnt vmcnt(1)
	v_ashrrev_i32_e32 v158, v146, v158
	v_and_b32_e32 v158, 0xf0f0f0f, v158
	s_waitcnt vmcnt(0)
	v_lshrrev_b32_e32 v159, v145, v157
	v_lshlrev_b32_e32 v159, 4, v159
	v_and_or_b32 v158, v159, 16, v158
	v_lshrrev_b32_e32 v159, v147, v157
	v_lshrrev_b32_e32 v160, v148, v157
	;; [unrolled: 1-line block ×3, first 2 shown]
	v_lshlrev_b32_e32 v159, 12, v159
	v_lshlrev_b32_e32 v160, 20, v160
	;; [unrolled: 1-line block ×3, first 2 shown]
	v_and_or_b32 v159, v159, s44, v158
	v_and_b32_e32 v160, 0x100000, v160
	v_and_b32_e32 v157, 0x10000000, v157
	v_or3_b32 v157, v160, v157, v159
	v_lshrrev_b32_e32 v159, 8, v159
	v_and_b32_e32 v158, 31, v158
	v_and_b32_e32 v159, 31, v159
	v_cvt_f16_u16_e32 v158, v158
	v_cvt_f16_u16_e32 v159, v159
	v_pack_b32_f16 v158, v158, v159
	v_and_b32_sdwa v159, v157, v152 dst_sel:DWORD dst_unused:UNUSED_PAD src0_sel:WORD_1 src1_sel:DWORD
	v_cvt_f16_u16_sdwa v157, v157 dst_sel:DWORD dst_unused:UNUSED_PAD src0_sel:BYTE_3
	v_cvt_f16_u16_e32 v159, v159
	v_mul_u32_u24_sdwa v160, v156, s51 dst_sel:DWORD dst_unused:UNUSED_PAD src0_sel:WORD_0 src1_sel:DWORD
	v_mul_u32_u24_sdwa v156, v156, s51 dst_sel:DWORD dst_unused:UNUSED_PAD src0_sel:WORD_1 src1_sel:DWORD
	v_pack_b32_f16 v157, v159, v157
	v_pk_fma_f16 v158, v158, v160, v156
	v_pk_fma_f16 v156, v157, v160, v156
	;; [unrolled: 1-line block ×4, first 2 shown]
	v_lshl_add_u64 v[156:157], s[20:21], 0, v[68:69]
	v_mad_u64_u32 v[158:159], s[12:13], v130, 24, v[156:157]
	v_lshl_add_u64 v[160:161], v[158:159], 0, v[62:63]
	global_load_dword v160, v[160:161], off offset:8
	v_mul_u32_u24_sdwa v164, v29, s51 dst_sel:DWORD dst_unused:UNUSED_PAD src0_sel:WORD_0 src1_sel:DWORD
	global_load_dwordx2 v[158:159], v[158:159], off
	v_mad_u64_u32 v[156:157], s[12:13], v128, 24, v[156:157]
	s_waitcnt vmcnt(1)
	v_ashrrev_i32_e32 v160, v146, v160
	v_and_b32_e32 v160, 0xf0f0f0f, v160
	s_waitcnt vmcnt(0)
	v_lshrrev_b32_e32 v161, v145, v159
	v_lshlrev_b32_e32 v161, 4, v161
	v_and_or_b32 v160, v161, 16, v160
	v_lshrrev_b32_e32 v161, v147, v159
	v_lshrrev_b32_e32 v165, v148, v159
	;; [unrolled: 1-line block ×3, first 2 shown]
	v_lshlrev_b32_e32 v161, 12, v161
	v_lshlrev_b32_e32 v165, 20, v165
	;; [unrolled: 1-line block ×3, first 2 shown]
	v_and_or_b32 v161, v161, s44, v160
	v_and_b32_e32 v165, 0x100000, v165
	v_and_b32_e32 v159, 0x10000000, v159
	v_or3_b32 v159, v165, v159, v161
	v_lshrrev_b32_e32 v161, 8, v161
	v_and_b32_e32 v160, 31, v160
	v_and_b32_e32 v161, 31, v161
	v_cvt_f16_u16_e32 v160, v160
	v_cvt_f16_u16_e32 v161, v161
	v_pack_b32_f16 v160, v160, v161
	v_and_b32_sdwa v161, v159, v152 dst_sel:DWORD dst_unused:UNUSED_PAD src0_sel:WORD_1 src1_sel:DWORD
	v_cvt_f16_u16_sdwa v159, v159 dst_sel:DWORD dst_unused:UNUSED_PAD src0_sel:BYTE_3
	v_cvt_f16_u16_e32 v161, v161
	v_mul_u32_u24_sdwa v165, v158, s51 dst_sel:DWORD dst_unused:UNUSED_PAD src0_sel:WORD_0 src1_sel:DWORD
	v_mul_u32_u24_sdwa v158, v158, s51 dst_sel:DWORD dst_unused:UNUSED_PAD src0_sel:WORD_1 src1_sel:DWORD
	v_pack_b32_f16 v159, v161, v159
	v_pk_fma_f16 v160, v160, v165, v158
	v_pk_fma_f16 v158, v159, v165, v158
	;; [unrolled: 1-line block ×4, first 2 shown]
	v_lshl_add_u64 v[158:159], v[156:157], 0, v[64:65]
	global_load_dword v158, v[158:159], off offset:8
	s_nop 0
	global_load_dwordx2 v[156:157], v[156:157], off
	s_waitcnt vmcnt(1)
	v_ashrrev_i32_e32 v158, v146, v158
	v_and_b32_e32 v158, 0xf0f0f0f, v158
	s_waitcnt vmcnt(0)
	v_lshrrev_b32_e32 v159, v145, v157
	v_lshlrev_b32_e32 v159, 4, v159
	v_and_or_b32 v158, v159, 16, v158
	v_lshrrev_b32_e32 v159, v147, v157
	v_lshrrev_b32_e32 v161, v148, v157
	;; [unrolled: 1-line block ×3, first 2 shown]
	v_lshlrev_b32_e32 v159, 12, v159
	v_lshlrev_b32_e32 v161, 20, v161
	;; [unrolled: 1-line block ×3, first 2 shown]
	v_and_or_b32 v159, v159, s44, v158
	v_and_b32_e32 v161, 0x100000, v161
	v_and_b32_e32 v157, 0x10000000, v157
	v_or3_b32 v157, v161, v157, v159
	v_lshrrev_b32_e32 v159, 8, v159
	v_and_b32_e32 v158, 31, v158
	v_and_b32_e32 v159, 31, v159
	v_cvt_f16_u16_e32 v158, v158
	v_cvt_f16_u16_e32 v159, v159
	v_pack_b32_f16 v158, v158, v159
	v_and_b32_sdwa v159, v157, v152 dst_sel:DWORD dst_unused:UNUSED_PAD src0_sel:WORD_1 src1_sel:DWORD
	v_cvt_f16_u16_sdwa v157, v157 dst_sel:DWORD dst_unused:UNUSED_PAD src0_sel:BYTE_3
	v_cvt_f16_u16_e32 v159, v159
	v_mul_u32_u24_sdwa v161, v156, s51 dst_sel:DWORD dst_unused:UNUSED_PAD src0_sel:WORD_0 src1_sel:DWORD
	v_mul_u32_u24_sdwa v156, v156, s51 dst_sel:DWORD dst_unused:UNUSED_PAD src0_sel:WORD_1 src1_sel:DWORD
	v_pack_b32_f16 v157, v159, v157
	v_pk_fma_f16 v158, v158, v161, v156
	v_pk_fma_f16 v156, v157, v161, v156
	;; [unrolled: 1-line block ×4, first 2 shown]
	v_mul_u32_u24_sdwa v163, v29, s51 dst_sel:DWORD dst_unused:UNUSED_PAD src0_sel:WORD_1 src1_sel:DWORD
	v_lshl_add_u64 v[28:29], s[20:21], 0, v[70:71]
	v_mad_u64_u32 v[156:157], s[12:13], v130, 24, v[28:29]
	v_lshl_add_u64 v[158:159], v[156:157], 0, v[62:63]
	global_load_dword v158, v[158:159], off offset:8
	v_mad_u64_u32 v[28:29], s[12:13], v128, 24, v[28:29]
	global_load_dwordx2 v[156:157], v[156:157], off
	s_waitcnt vmcnt(1)
	v_ashrrev_i32_e32 v158, v146, v158
	v_and_b32_e32 v158, 0xf0f0f0f, v158
	s_waitcnt vmcnt(0)
	v_lshrrev_b32_e32 v159, v145, v157
	v_lshlrev_b32_e32 v159, 4, v159
	v_and_or_b32 v158, v159, 16, v158
	v_lshrrev_b32_e32 v159, v147, v157
	v_lshrrev_b32_e32 v164, v148, v157
	;; [unrolled: 1-line block ×3, first 2 shown]
	v_lshlrev_b32_e32 v159, 12, v159
	v_lshlrev_b32_e32 v164, 20, v164
	;; [unrolled: 1-line block ×3, first 2 shown]
	v_and_or_b32 v159, v159, s44, v158
	v_and_b32_e32 v164, 0x100000, v164
	v_and_b32_e32 v157, 0x10000000, v157
	v_or3_b32 v157, v164, v157, v159
	v_lshrrev_b32_e32 v159, 8, v159
	v_and_b32_e32 v158, 31, v158
	v_and_b32_e32 v159, 31, v159
	v_cvt_f16_u16_e32 v158, v158
	v_cvt_f16_u16_e32 v159, v159
	v_pack_b32_f16 v158, v158, v159
	v_and_b32_sdwa v159, v157, v152 dst_sel:DWORD dst_unused:UNUSED_PAD src0_sel:WORD_1 src1_sel:DWORD
	v_cvt_f16_u16_sdwa v157, v157 dst_sel:DWORD dst_unused:UNUSED_PAD src0_sel:BYTE_3
	v_cvt_f16_u16_e32 v159, v159
	v_mul_u32_u24_sdwa v164, v156, s51 dst_sel:DWORD dst_unused:UNUSED_PAD src0_sel:WORD_0 src1_sel:DWORD
	v_mul_u32_u24_sdwa v156, v156, s51 dst_sel:DWORD dst_unused:UNUSED_PAD src0_sel:WORD_1 src1_sel:DWORD
	v_pack_b32_f16 v157, v159, v157
	v_pk_fma_f16 v158, v158, v164, v156
	v_pk_fma_f16 v156, v157, v164, v156
	;; [unrolled: 1-line block ×4, first 2 shown]
	v_lshl_add_u64 v[156:157], v[28:29], 0, v[64:65]
	global_load_dword v156, v[156:157], off offset:8
	s_nop 0
	global_load_dwordx2 v[28:29], v[28:29], off
	s_waitcnt vmcnt(1)
	v_ashrrev_i32_e32 v156, v146, v156
	v_and_b32_e32 v156, 0xf0f0f0f, v156
	s_waitcnt vmcnt(0)
	v_lshrrev_b32_e32 v157, v145, v29
	v_lshlrev_b32_e32 v157, 4, v157
	v_and_or_b32 v156, v157, 16, v156
	v_lshrrev_b32_e32 v157, v147, v29
	v_lshrrev_b32_e32 v158, v148, v29
	;; [unrolled: 1-line block ×3, first 2 shown]
	v_lshlrev_b32_e32 v157, 12, v157
	v_lshlrev_b32_e32 v158, 20, v158
	;; [unrolled: 1-line block ×3, first 2 shown]
	v_and_or_b32 v157, v157, s44, v156
	v_and_b32_e32 v158, 0x100000, v158
	v_and_b32_e32 v29, 0x10000000, v29
	v_or3_b32 v29, v158, v29, v157
	v_lshrrev_b32_e32 v157, 8, v157
	v_and_b32_e32 v156, 31, v156
	v_and_b32_e32 v157, 31, v157
	v_cvt_f16_u16_e32 v156, v156
	v_cvt_f16_u16_e32 v157, v157
	v_pack_b32_f16 v156, v156, v157
	v_and_b32_sdwa v157, v29, v152 dst_sel:DWORD dst_unused:UNUSED_PAD src0_sel:WORD_1 src1_sel:DWORD
	v_cvt_f16_u16_sdwa v29, v29 dst_sel:DWORD dst_unused:UNUSED_PAD src0_sel:BYTE_3
	v_cvt_f16_u16_e32 v157, v157
	v_mul_u32_u24_sdwa v158, v28, s51 dst_sel:DWORD dst_unused:UNUSED_PAD src0_sel:WORD_0 src1_sel:DWORD
	v_mul_u32_u24_sdwa v28, v28, s51 dst_sel:DWORD dst_unused:UNUSED_PAD src0_sel:WORD_1 src1_sel:DWORD
	v_pack_b32_f16 v29, v157, v29
	v_pk_fma_f16 v156, v156, v158, v28
	v_pk_fma_f16 v28, v29, v158, v28
	;; [unrolled: 1-line block ×4, first 2 shown]
	v_lshl_add_u64 v[28:29], s[20:21], 0, v[72:73]
	v_mad_u64_u32 v[156:157], s[12:13], v130, 24, v[28:29]
	v_lshl_add_u64 v[158:159], v[156:157], 0, v[62:63]
	global_load_dword v158, v[158:159], off offset:8
	v_mul_u32_u24_sdwa v163, v30, s51 dst_sel:DWORD dst_unused:UNUSED_PAD src0_sel:WORD_0 src1_sel:DWORD
	global_load_dwordx2 v[156:157], v[156:157], off
	v_mad_u64_u32 v[28:29], s[12:13], v128, 24, v[28:29]
	v_mul_u32_u24_sdwa v30, v30, s51 dst_sel:DWORD dst_unused:UNUSED_PAD src0_sel:WORD_1 src1_sel:DWORD
	s_waitcnt vmcnt(1)
	v_ashrrev_i32_e32 v158, v146, v158
	v_and_b32_e32 v158, 0xf0f0f0f, v158
	s_waitcnt vmcnt(0)
	v_lshrrev_b32_e32 v159, v145, v157
	v_lshlrev_b32_e32 v159, 4, v159
	v_and_or_b32 v158, v159, 16, v158
	v_lshrrev_b32_e32 v159, v147, v157
	v_lshrrev_b32_e32 v164, v148, v157
	;; [unrolled: 1-line block ×3, first 2 shown]
	v_lshlrev_b32_e32 v159, 12, v159
	v_lshlrev_b32_e32 v164, 20, v164
	;; [unrolled: 1-line block ×3, first 2 shown]
	v_and_or_b32 v159, v159, s44, v158
	v_and_b32_e32 v164, 0x100000, v164
	v_and_b32_e32 v157, 0x10000000, v157
	v_or3_b32 v157, v164, v157, v159
	v_lshrrev_b32_e32 v159, 8, v159
	v_and_b32_e32 v158, 31, v158
	v_and_b32_e32 v159, 31, v159
	v_cvt_f16_u16_e32 v158, v158
	v_cvt_f16_u16_e32 v159, v159
	v_pack_b32_f16 v158, v158, v159
	v_and_b32_sdwa v159, v157, v152 dst_sel:DWORD dst_unused:UNUSED_PAD src0_sel:WORD_1 src1_sel:DWORD
	v_cvt_f16_u16_sdwa v157, v157 dst_sel:DWORD dst_unused:UNUSED_PAD src0_sel:BYTE_3
	v_cvt_f16_u16_e32 v159, v159
	v_mul_u32_u24_sdwa v164, v156, s51 dst_sel:DWORD dst_unused:UNUSED_PAD src0_sel:WORD_0 src1_sel:DWORD
	v_mul_u32_u24_sdwa v156, v156, s51 dst_sel:DWORD dst_unused:UNUSED_PAD src0_sel:WORD_1 src1_sel:DWORD
	v_pack_b32_f16 v157, v159, v157
	v_pk_fma_f16 v158, v158, v164, v156
	v_pk_fma_f16 v156, v157, v164, v156
	;; [unrolled: 1-line block ×4, first 2 shown]
	v_lshl_add_u64 v[156:157], v[28:29], 0, v[64:65]
	global_load_dword v156, v[156:157], off offset:8
	s_nop 0
	global_load_dwordx2 v[28:29], v[28:29], off
	s_waitcnt vmcnt(1)
	v_ashrrev_i32_e32 v156, v146, v156
	v_and_b32_e32 v156, 0xf0f0f0f, v156
	s_waitcnt vmcnt(0)
	v_lshrrev_b32_e32 v157, v145, v29
	v_lshlrev_b32_e32 v157, 4, v157
	v_and_or_b32 v156, v157, 16, v156
	v_lshrrev_b32_e32 v157, v147, v29
	v_lshrrev_b32_e32 v158, v148, v29
	;; [unrolled: 1-line block ×3, first 2 shown]
	v_lshlrev_b32_e32 v157, 12, v157
	v_lshlrev_b32_e32 v158, 20, v158
	;; [unrolled: 1-line block ×3, first 2 shown]
	v_and_or_b32 v157, v157, s44, v156
	v_and_b32_e32 v158, 0x100000, v158
	v_and_b32_e32 v29, 0x10000000, v29
	v_or3_b32 v29, v158, v29, v157
	v_lshrrev_b32_e32 v157, 8, v157
	v_and_b32_e32 v156, 31, v156
	v_and_b32_e32 v157, 31, v157
	v_cvt_f16_u16_e32 v156, v156
	v_cvt_f16_u16_e32 v157, v157
	v_pack_b32_f16 v156, v156, v157
	v_and_b32_sdwa v157, v29, v152 dst_sel:DWORD dst_unused:UNUSED_PAD src0_sel:WORD_1 src1_sel:DWORD
	v_cvt_f16_u16_sdwa v29, v29 dst_sel:DWORD dst_unused:UNUSED_PAD src0_sel:BYTE_3
	v_cvt_f16_u16_e32 v157, v157
	v_mul_u32_u24_sdwa v158, v28, s51 dst_sel:DWORD dst_unused:UNUSED_PAD src0_sel:WORD_0 src1_sel:DWORD
	v_mul_u32_u24_sdwa v28, v28, s51 dst_sel:DWORD dst_unused:UNUSED_PAD src0_sel:WORD_1 src1_sel:DWORD
	v_pack_b32_f16 v29, v157, v29
	v_pk_fma_f16 v156, v156, v158, v28
	v_pk_fma_f16 v28, v29, v158, v28
	;; [unrolled: 1-line block ×4, first 2 shown]
	v_lshl_add_u64 v[28:29], s[20:21], 0, v[74:75]
	v_mad_u64_u32 v[156:157], s[12:13], v130, 24, v[28:29]
	v_lshl_add_u64 v[158:159], v[156:157], 0, v[62:63]
	global_load_dword v158, v[158:159], off offset:8
	v_mad_u64_u32 v[28:29], s[12:13], v128, 24, v[28:29]
	global_load_dwordx2 v[156:157], v[156:157], off
	s_waitcnt vmcnt(1)
	v_ashrrev_i32_e32 v158, v146, v158
	v_and_b32_e32 v158, 0xf0f0f0f, v158
	s_waitcnt vmcnt(0)
	v_lshrrev_b32_e32 v159, v145, v157
	v_lshlrev_b32_e32 v159, 4, v159
	v_and_or_b32 v158, v159, 16, v158
	v_lshrrev_b32_e32 v159, v147, v157
	v_lshrrev_b32_e32 v163, v148, v157
	;; [unrolled: 1-line block ×3, first 2 shown]
	v_lshlrev_b32_e32 v159, 12, v159
	v_lshlrev_b32_e32 v163, 20, v163
	;; [unrolled: 1-line block ×3, first 2 shown]
	v_and_or_b32 v159, v159, s44, v158
	v_and_b32_e32 v163, 0x100000, v163
	v_and_b32_e32 v157, 0x10000000, v157
	v_or3_b32 v157, v163, v157, v159
	v_lshrrev_b32_e32 v159, 8, v159
	v_and_b32_e32 v158, 31, v158
	v_and_b32_e32 v159, 31, v159
	v_cvt_f16_u16_e32 v158, v158
	v_cvt_f16_u16_e32 v159, v159
	v_pack_b32_f16 v158, v158, v159
	v_and_b32_sdwa v159, v157, v152 dst_sel:DWORD dst_unused:UNUSED_PAD src0_sel:WORD_1 src1_sel:DWORD
	v_cvt_f16_u16_sdwa v157, v157 dst_sel:DWORD dst_unused:UNUSED_PAD src0_sel:BYTE_3
	v_cvt_f16_u16_e32 v159, v159
	v_mul_u32_u24_sdwa v163, v156, s51 dst_sel:DWORD dst_unused:UNUSED_PAD src0_sel:WORD_0 src1_sel:DWORD
	v_mul_u32_u24_sdwa v156, v156, s51 dst_sel:DWORD dst_unused:UNUSED_PAD src0_sel:WORD_1 src1_sel:DWORD
	v_pack_b32_f16 v157, v159, v157
	v_pk_fma_f16 v158, v158, v163, v156
	v_pk_fma_f16 v156, v157, v163, v156
	;; [unrolled: 1-line block ×4, first 2 shown]
	v_lshl_add_u64 v[156:157], v[28:29], 0, v[64:65]
	global_load_dword v156, v[156:157], off offset:8
	s_nop 0
	global_load_dwordx2 v[28:29], v[28:29], off
	s_waitcnt vmcnt(1)
	v_ashrrev_i32_e32 v156, v146, v156
	v_and_b32_e32 v156, 0xf0f0f0f, v156
	s_waitcnt vmcnt(0)
	v_lshrrev_b32_e32 v157, v145, v29
	v_lshlrev_b32_e32 v157, 4, v157
	v_and_or_b32 v156, v157, 16, v156
	v_lshrrev_b32_e32 v157, v147, v29
	v_lshrrev_b32_e32 v158, v148, v29
	;; [unrolled: 1-line block ×3, first 2 shown]
	v_lshlrev_b32_e32 v157, 12, v157
	v_lshlrev_b32_e32 v158, 20, v158
	;; [unrolled: 1-line block ×3, first 2 shown]
	v_and_or_b32 v157, v157, s44, v156
	v_and_b32_e32 v158, 0x100000, v158
	v_and_b32_e32 v29, 0x10000000, v29
	v_or3_b32 v29, v158, v29, v157
	v_lshrrev_b32_e32 v157, 8, v157
	v_and_b32_e32 v156, 31, v156
	v_and_b32_e32 v157, 31, v157
	v_cvt_f16_u16_e32 v156, v156
	v_cvt_f16_u16_e32 v157, v157
	v_pack_b32_f16 v156, v156, v157
	v_and_b32_sdwa v157, v29, v152 dst_sel:DWORD dst_unused:UNUSED_PAD src0_sel:WORD_1 src1_sel:DWORD
	v_cvt_f16_u16_sdwa v29, v29 dst_sel:DWORD dst_unused:UNUSED_PAD src0_sel:BYTE_3
	v_cvt_f16_u16_e32 v157, v157
	v_mul_u32_u24_sdwa v158, v28, s51 dst_sel:DWORD dst_unused:UNUSED_PAD src0_sel:WORD_0 src1_sel:DWORD
	v_mul_u32_u24_sdwa v28, v28, s51 dst_sel:DWORD dst_unused:UNUSED_PAD src0_sel:WORD_1 src1_sel:DWORD
	v_pack_b32_f16 v29, v157, v29
	v_pk_fma_f16 v156, v156, v158, v28
	v_pk_fma_f16 v28, v29, v158, v28
	;; [unrolled: 1-line block ×4, first 2 shown]
	v_lshl_add_u64 v[28:29], s[20:21], 0, v[76:77]
	v_mad_u64_u32 v[156:157], s[12:13], v130, 24, v[28:29]
	v_lshl_add_u64 v[158:159], v[156:157], 0, v[62:63]
	global_load_dword v158, v[158:159], off offset:8
	v_mul_u32_u24_sdwa v162, v31, s51 dst_sel:DWORD dst_unused:UNUSED_PAD src0_sel:WORD_0 src1_sel:DWORD
	global_load_dwordx2 v[156:157], v[156:157], off
	v_mad_u64_u32 v[28:29], s[12:13], v128, 24, v[28:29]
	s_waitcnt vmcnt(1)
	v_ashrrev_i32_e32 v158, v146, v158
	v_and_b32_e32 v158, 0xf0f0f0f, v158
	s_waitcnt vmcnt(0)
	v_lshrrev_b32_e32 v159, v145, v157
	v_lshlrev_b32_e32 v159, 4, v159
	v_and_or_b32 v158, v159, 16, v158
	v_lshrrev_b32_e32 v159, v147, v157
	v_lshrrev_b32_e32 v163, v148, v157
	;; [unrolled: 1-line block ×3, first 2 shown]
	v_lshlrev_b32_e32 v159, 12, v159
	v_lshlrev_b32_e32 v163, 20, v163
	;; [unrolled: 1-line block ×3, first 2 shown]
	v_and_or_b32 v159, v159, s44, v158
	v_and_b32_e32 v163, 0x100000, v163
	v_and_b32_e32 v157, 0x10000000, v157
	v_or3_b32 v157, v163, v157, v159
	v_lshrrev_b32_e32 v159, 8, v159
	v_and_b32_e32 v158, 31, v158
	v_and_b32_e32 v159, 31, v159
	v_cvt_f16_u16_e32 v158, v158
	v_cvt_f16_u16_e32 v159, v159
	v_pack_b32_f16 v158, v158, v159
	v_and_b32_sdwa v159, v157, v152 dst_sel:DWORD dst_unused:UNUSED_PAD src0_sel:WORD_1 src1_sel:DWORD
	v_cvt_f16_u16_sdwa v157, v157 dst_sel:DWORD dst_unused:UNUSED_PAD src0_sel:BYTE_3
	v_cvt_f16_u16_e32 v159, v159
	v_mul_u32_u24_sdwa v163, v156, s51 dst_sel:DWORD dst_unused:UNUSED_PAD src0_sel:WORD_0 src1_sel:DWORD
	v_mul_u32_u24_sdwa v156, v156, s51 dst_sel:DWORD dst_unused:UNUSED_PAD src0_sel:WORD_1 src1_sel:DWORD
	v_pack_b32_f16 v157, v159, v157
	v_pk_fma_f16 v158, v158, v163, v156
	v_pk_fma_f16 v156, v157, v163, v156
	;; [unrolled: 1-line block ×4, first 2 shown]
	v_lshl_add_u64 v[156:157], v[28:29], 0, v[64:65]
	global_load_dword v156, v[156:157], off offset:8
	s_nop 0
	global_load_dwordx2 v[28:29], v[28:29], off
	s_waitcnt vmcnt(1)
	v_ashrrev_i32_e32 v156, v146, v156
	v_and_b32_e32 v156, 0xf0f0f0f, v156
	s_waitcnt vmcnt(0)
	v_lshrrev_b32_e32 v157, v145, v29
	v_lshlrev_b32_e32 v157, 4, v157
	v_and_or_b32 v156, v157, 16, v156
	v_lshrrev_b32_e32 v157, v147, v29
	v_lshrrev_b32_e32 v159, v148, v29
	v_lshrrev_b32_e32 v29, v149, v29
	v_lshlrev_b32_e32 v157, 12, v157
	v_lshlrev_b32_e32 v159, 20, v159
	;; [unrolled: 1-line block ×3, first 2 shown]
	v_and_or_b32 v157, v157, s44, v156
	v_and_b32_e32 v159, 0x100000, v159
	v_and_b32_e32 v29, 0x10000000, v29
	v_or3_b32 v29, v159, v29, v157
	v_lshrrev_b32_e32 v157, 8, v157
	v_and_b32_e32 v156, 31, v156
	v_and_b32_e32 v157, 31, v157
	v_cvt_f16_u16_e32 v156, v156
	v_cvt_f16_u16_e32 v157, v157
	v_pack_b32_f16 v156, v156, v157
	v_and_b32_sdwa v157, v29, v152 dst_sel:DWORD dst_unused:UNUSED_PAD src0_sel:WORD_1 src1_sel:DWORD
	v_cvt_f16_u16_sdwa v29, v29 dst_sel:DWORD dst_unused:UNUSED_PAD src0_sel:BYTE_3
	v_cvt_f16_u16_e32 v157, v157
	v_mul_u32_u24_sdwa v159, v28, s51 dst_sel:DWORD dst_unused:UNUSED_PAD src0_sel:WORD_0 src1_sel:DWORD
	v_mul_u32_u24_sdwa v28, v28, s51 dst_sel:DWORD dst_unused:UNUSED_PAD src0_sel:WORD_1 src1_sel:DWORD
	v_pack_b32_f16 v29, v157, v29
	v_pk_fma_f16 v156, v156, v159, v28
	v_pk_fma_f16 v28, v29, v159, v28
	;; [unrolled: 1-line block ×4, first 2 shown]
	v_lshl_add_u64 v[28:29], s[20:21], 0, v[78:79]
	v_mul_u32_u24_sdwa v161, v31, s51 dst_sel:DWORD dst_unused:UNUSED_PAD src0_sel:WORD_1 src1_sel:DWORD
	v_mad_u64_u32 v[30:31], s[12:13], v130, 24, v[28:29]
	v_lshl_add_u64 v[156:157], v[30:31], 0, v[62:63]
	global_load_dword v156, v[156:157], off offset:8
	v_mad_u64_u32 v[28:29], s[12:13], v128, 24, v[28:29]
	global_load_dwordx2 v[30:31], v[30:31], off
	s_waitcnt vmcnt(1)
	v_ashrrev_i32_e32 v156, v146, v156
	v_and_b32_e32 v156, 0xf0f0f0f, v156
	s_waitcnt vmcnt(0)
	v_lshrrev_b32_e32 v157, v145, v31
	v_lshlrev_b32_e32 v157, 4, v157
	v_and_or_b32 v156, v157, 16, v156
	v_lshrrev_b32_e32 v157, v147, v31
	v_lshrrev_b32_e32 v162, v148, v31
	;; [unrolled: 1-line block ×3, first 2 shown]
	v_lshlrev_b32_e32 v157, 12, v157
	v_lshlrev_b32_e32 v162, 20, v162
	v_lshlrev_b32_e32 v31, 28, v31
	v_and_or_b32 v157, v157, s44, v156
	v_and_b32_e32 v162, 0x100000, v162
	v_and_b32_e32 v31, 0x10000000, v31
	v_or3_b32 v31, v162, v31, v157
	v_lshrrev_b32_e32 v157, 8, v157
	v_and_b32_e32 v156, 31, v156
	v_and_b32_e32 v157, 31, v157
	v_cvt_f16_u16_e32 v156, v156
	v_cvt_f16_u16_e32 v157, v157
	v_pack_b32_f16 v156, v156, v157
	v_and_b32_sdwa v157, v31, v152 dst_sel:DWORD dst_unused:UNUSED_PAD src0_sel:WORD_1 src1_sel:DWORD
	v_cvt_f16_u16_sdwa v31, v31 dst_sel:DWORD dst_unused:UNUSED_PAD src0_sel:BYTE_3
	v_cvt_f16_u16_e32 v157, v157
	v_mul_u32_u24_sdwa v162, v30, s51 dst_sel:DWORD dst_unused:UNUSED_PAD src0_sel:WORD_0 src1_sel:DWORD
	v_mul_u32_u24_sdwa v30, v30, s51 dst_sel:DWORD dst_unused:UNUSED_PAD src0_sel:WORD_1 src1_sel:DWORD
	v_pack_b32_f16 v31, v157, v31
	v_pk_fma_f16 v156, v156, v162, v30
	v_pk_fma_f16 v30, v31, v162, v30
	;; [unrolled: 1-line block ×4, first 2 shown]
	v_lshl_add_u64 v[30:31], v[28:29], 0, v[64:65]
	global_load_dword v30, v[30:31], off offset:8
	s_nop 0
	global_load_dwordx2 v[28:29], v[28:29], off
	s_waitcnt vmcnt(1)
	v_ashrrev_i32_e32 v30, v146, v30
	v_and_b32_e32 v30, 0xf0f0f0f, v30
	s_waitcnt vmcnt(0)
	v_lshrrev_b32_e32 v31, v145, v29
	v_lshlrev_b32_e32 v31, 4, v31
	v_and_or_b32 v30, v31, 16, v30
	v_lshrrev_b32_e32 v31, v147, v29
	v_lshrrev_b32_e32 v156, v148, v29
	;; [unrolled: 1-line block ×3, first 2 shown]
	v_lshlrev_b32_e32 v31, 12, v31
	v_lshlrev_b32_e32 v156, 20, v156
	;; [unrolled: 1-line block ×3, first 2 shown]
	v_and_or_b32 v31, v31, s44, v30
	v_and_b32_e32 v156, 0x100000, v156
	v_and_b32_e32 v29, 0x10000000, v29
	v_or3_b32 v29, v156, v29, v31
	v_lshrrev_b32_e32 v31, 8, v31
	v_and_b32_e32 v30, 31, v30
	v_and_b32_e32 v31, 31, v31
	v_cvt_f16_u16_e32 v30, v30
	v_cvt_f16_u16_e32 v31, v31
	v_pack_b32_f16 v30, v30, v31
	v_and_b32_sdwa v31, v29, v152 dst_sel:DWORD dst_unused:UNUSED_PAD src0_sel:WORD_1 src1_sel:DWORD
	v_cvt_f16_u16_sdwa v29, v29 dst_sel:DWORD dst_unused:UNUSED_PAD src0_sel:BYTE_3
	v_cvt_f16_u16_e32 v31, v31
	v_mul_u32_u24_sdwa v156, v28, s51 dst_sel:DWORD dst_unused:UNUSED_PAD src0_sel:WORD_0 src1_sel:DWORD
	v_mul_u32_u24_sdwa v28, v28, s51 dst_sel:DWORD dst_unused:UNUSED_PAD src0_sel:WORD_1 src1_sel:DWORD
	v_pack_b32_f16 v29, v31, v29
	v_pk_fma_f16 v30, v30, v156, v28
	v_pk_fma_f16 v28, v29, v156, v28
	;; [unrolled: 1-line block ×4, first 2 shown]
	v_lshl_add_u64 v[28:29], s[20:21], 0, v[80:81]
	v_mad_u64_u32 v[30:31], s[12:13], v130, 24, v[28:29]
	v_lshl_add_u64 v[156:157], v[30:31], 0, v[62:63]
	global_load_dword v156, v[156:157], off offset:8
	s_waitcnt lgkmcnt(2)
	v_mul_u32_u24_sdwa v161, v24, s51 dst_sel:DWORD dst_unused:UNUSED_PAD src0_sel:WORD_0 src1_sel:DWORD
	global_load_dwordx2 v[30:31], v[30:31], off
	v_mad_u64_u32 v[28:29], s[12:13], v128, 24, v[28:29]
	v_mul_u32_u24_sdwa v24, v24, s51 dst_sel:DWORD dst_unused:UNUSED_PAD src0_sel:WORD_1 src1_sel:DWORD
	s_waitcnt vmcnt(1)
	v_ashrrev_i32_e32 v156, v146, v156
	v_and_b32_e32 v156, 0xf0f0f0f, v156
	s_waitcnt vmcnt(0)
	v_lshrrev_b32_e32 v157, v145, v31
	v_lshlrev_b32_e32 v157, 4, v157
	v_and_or_b32 v156, v157, 16, v156
	v_lshrrev_b32_e32 v157, v147, v31
	v_lshrrev_b32_e32 v162, v148, v31
	;; [unrolled: 1-line block ×3, first 2 shown]
	v_lshlrev_b32_e32 v157, 12, v157
	v_lshlrev_b32_e32 v162, 20, v162
	;; [unrolled: 1-line block ×3, first 2 shown]
	v_and_or_b32 v157, v157, s44, v156
	v_and_b32_e32 v162, 0x100000, v162
	v_and_b32_e32 v31, 0x10000000, v31
	v_or3_b32 v31, v162, v31, v157
	v_lshrrev_b32_e32 v157, 8, v157
	v_and_b32_e32 v156, 31, v156
	v_and_b32_e32 v157, 31, v157
	v_cvt_f16_u16_e32 v156, v156
	v_cvt_f16_u16_e32 v157, v157
	v_pack_b32_f16 v156, v156, v157
	v_and_b32_sdwa v157, v31, v152 dst_sel:DWORD dst_unused:UNUSED_PAD src0_sel:WORD_1 src1_sel:DWORD
	v_cvt_f16_u16_sdwa v31, v31 dst_sel:DWORD dst_unused:UNUSED_PAD src0_sel:BYTE_3
	v_cvt_f16_u16_e32 v157, v157
	v_mul_u32_u24_sdwa v162, v30, s51 dst_sel:DWORD dst_unused:UNUSED_PAD src0_sel:WORD_0 src1_sel:DWORD
	v_mul_u32_u24_sdwa v30, v30, s51 dst_sel:DWORD dst_unused:UNUSED_PAD src0_sel:WORD_1 src1_sel:DWORD
	v_pack_b32_f16 v31, v157, v31
	v_pk_fma_f16 v156, v156, v162, v30
	v_pk_fma_f16 v30, v31, v162, v30
	;; [unrolled: 1-line block ×4, first 2 shown]
	v_lshl_add_u64 v[30:31], v[28:29], 0, v[64:65]
	global_load_dword v30, v[30:31], off offset:8
	s_nop 0
	global_load_dwordx2 v[28:29], v[28:29], off
	s_waitcnt vmcnt(1)
	v_ashrrev_i32_e32 v30, v146, v30
	v_and_b32_e32 v30, 0xf0f0f0f, v30
	s_waitcnt vmcnt(0)
	v_lshrrev_b32_e32 v31, v145, v29
	v_lshlrev_b32_e32 v31, 4, v31
	v_and_or_b32 v30, v31, 16, v30
	v_lshrrev_b32_e32 v31, v147, v29
	v_lshrrev_b32_e32 v156, v148, v29
	;; [unrolled: 1-line block ×3, first 2 shown]
	v_lshlrev_b32_e32 v31, 12, v31
	v_lshlrev_b32_e32 v156, 20, v156
	;; [unrolled: 1-line block ×3, first 2 shown]
	v_and_or_b32 v31, v31, s44, v30
	v_and_b32_e32 v156, 0x100000, v156
	v_and_b32_e32 v29, 0x10000000, v29
	v_or3_b32 v29, v156, v29, v31
	v_lshrrev_b32_e32 v31, 8, v31
	v_and_b32_e32 v30, 31, v30
	v_and_b32_e32 v31, 31, v31
	v_cvt_f16_u16_e32 v30, v30
	v_cvt_f16_u16_e32 v31, v31
	v_pack_b32_f16 v30, v30, v31
	v_and_b32_sdwa v31, v29, v152 dst_sel:DWORD dst_unused:UNUSED_PAD src0_sel:WORD_1 src1_sel:DWORD
	v_cvt_f16_u16_sdwa v29, v29 dst_sel:DWORD dst_unused:UNUSED_PAD src0_sel:BYTE_3
	v_cvt_f16_u16_e32 v31, v31
	v_mul_u32_u24_sdwa v156, v28, s51 dst_sel:DWORD dst_unused:UNUSED_PAD src0_sel:WORD_0 src1_sel:DWORD
	v_mul_u32_u24_sdwa v28, v28, s51 dst_sel:DWORD dst_unused:UNUSED_PAD src0_sel:WORD_1 src1_sel:DWORD
	v_pack_b32_f16 v29, v31, v29
	v_pk_fma_f16 v30, v30, v156, v28
	v_pk_fma_f16 v28, v29, v156, v28
	;; [unrolled: 1-line block ×4, first 2 shown]
	v_lshl_add_u64 v[28:29], s[20:21], 0, v[82:83]
	v_mad_u64_u32 v[30:31], s[12:13], v130, 24, v[28:29]
	v_lshl_add_u64 v[156:157], v[30:31], 0, v[62:63]
	global_load_dword v156, v[156:157], off offset:8
	v_mad_u64_u32 v[28:29], s[12:13], v128, 24, v[28:29]
	global_load_dwordx2 v[30:31], v[30:31], off
	s_waitcnt vmcnt(1)
	v_ashrrev_i32_e32 v156, v146, v156
	v_and_b32_e32 v156, 0xf0f0f0f, v156
	s_waitcnt vmcnt(0)
	v_lshrrev_b32_e32 v157, v145, v31
	v_lshlrev_b32_e32 v157, 4, v157
	v_and_or_b32 v156, v157, 16, v156
	v_lshrrev_b32_e32 v157, v147, v31
	v_lshrrev_b32_e32 v161, v148, v31
	v_lshrrev_b32_e32 v31, v149, v31
	v_lshlrev_b32_e32 v157, 12, v157
	v_lshlrev_b32_e32 v161, 20, v161
	;; [unrolled: 1-line block ×3, first 2 shown]
	v_and_or_b32 v157, v157, s44, v156
	v_and_b32_e32 v161, 0x100000, v161
	v_and_b32_e32 v31, 0x10000000, v31
	v_or3_b32 v31, v161, v31, v157
	v_lshrrev_b32_e32 v157, 8, v157
	v_and_b32_e32 v156, 31, v156
	v_and_b32_e32 v157, 31, v157
	v_cvt_f16_u16_e32 v156, v156
	v_cvt_f16_u16_e32 v157, v157
	v_pack_b32_f16 v156, v156, v157
	v_and_b32_sdwa v157, v31, v152 dst_sel:DWORD dst_unused:UNUSED_PAD src0_sel:WORD_1 src1_sel:DWORD
	v_cvt_f16_u16_sdwa v31, v31 dst_sel:DWORD dst_unused:UNUSED_PAD src0_sel:BYTE_3
	v_cvt_f16_u16_e32 v157, v157
	v_mul_u32_u24_sdwa v161, v30, s51 dst_sel:DWORD dst_unused:UNUSED_PAD src0_sel:WORD_0 src1_sel:DWORD
	v_mul_u32_u24_sdwa v30, v30, s51 dst_sel:DWORD dst_unused:UNUSED_PAD src0_sel:WORD_1 src1_sel:DWORD
	v_pack_b32_f16 v31, v157, v31
	v_pk_fma_f16 v156, v156, v161, v30
	v_pk_fma_f16 v30, v31, v161, v30
	;; [unrolled: 1-line block ×4, first 2 shown]
	v_lshl_add_u64 v[30:31], v[28:29], 0, v[64:65]
	global_load_dword v30, v[30:31], off offset:8
	s_nop 0
	global_load_dwordx2 v[28:29], v[28:29], off
	s_waitcnt vmcnt(1)
	v_ashrrev_i32_e32 v30, v146, v30
	v_and_b32_e32 v30, 0xf0f0f0f, v30
	s_waitcnt vmcnt(0)
	v_lshrrev_b32_e32 v31, v145, v29
	v_lshlrev_b32_e32 v31, 4, v31
	v_and_or_b32 v30, v31, 16, v30
	v_lshrrev_b32_e32 v31, v147, v29
	v_lshrrev_b32_e32 v156, v148, v29
	;; [unrolled: 1-line block ×3, first 2 shown]
	v_lshlrev_b32_e32 v31, 12, v31
	v_lshlrev_b32_e32 v156, 20, v156
	;; [unrolled: 1-line block ×3, first 2 shown]
	v_and_or_b32 v31, v31, s44, v30
	v_and_b32_e32 v156, 0x100000, v156
	v_and_b32_e32 v29, 0x10000000, v29
	v_or3_b32 v29, v156, v29, v31
	v_lshrrev_b32_e32 v31, 8, v31
	v_and_b32_e32 v30, 31, v30
	v_and_b32_e32 v31, 31, v31
	v_cvt_f16_u16_e32 v30, v30
	v_cvt_f16_u16_e32 v31, v31
	v_pack_b32_f16 v30, v30, v31
	v_and_b32_sdwa v31, v29, v152 dst_sel:DWORD dst_unused:UNUSED_PAD src0_sel:WORD_1 src1_sel:DWORD
	v_cvt_f16_u16_sdwa v29, v29 dst_sel:DWORD dst_unused:UNUSED_PAD src0_sel:BYTE_3
	v_cvt_f16_u16_e32 v31, v31
	v_mul_u32_u24_sdwa v156, v28, s51 dst_sel:DWORD dst_unused:UNUSED_PAD src0_sel:WORD_0 src1_sel:DWORD
	v_mul_u32_u24_sdwa v28, v28, s51 dst_sel:DWORD dst_unused:UNUSED_PAD src0_sel:WORD_1 src1_sel:DWORD
	v_pack_b32_f16 v29, v31, v29
	v_pk_fma_f16 v30, v30, v156, v28
	v_pk_fma_f16 v28, v29, v156, v28
	;; [unrolled: 1-line block ×4, first 2 shown]
	v_lshl_add_u64 v[28:29], s[20:21], 0, v[84:85]
	v_mad_u64_u32 v[30:31], s[12:13], v130, 24, v[28:29]
	v_lshl_add_u64 v[156:157], v[30:31], 0, v[62:63]
	global_load_dword v156, v[156:157], off offset:8
	v_mul_u32_u24_sdwa v160, v25, s51 dst_sel:DWORD dst_unused:UNUSED_PAD src0_sel:WORD_0 src1_sel:DWORD
	global_load_dwordx2 v[30:31], v[30:31], off
	v_mad_u64_u32 v[28:29], s[12:13], v128, 24, v[28:29]
	s_waitcnt vmcnt(1)
	v_ashrrev_i32_e32 v156, v146, v156
	v_and_b32_e32 v156, 0xf0f0f0f, v156
	s_waitcnt vmcnt(0)
	v_lshrrev_b32_e32 v157, v145, v31
	v_lshlrev_b32_e32 v157, 4, v157
	v_and_or_b32 v156, v157, 16, v156
	v_lshrrev_b32_e32 v157, v147, v31
	v_lshrrev_b32_e32 v161, v148, v31
	;; [unrolled: 1-line block ×3, first 2 shown]
	v_lshlrev_b32_e32 v157, 12, v157
	v_lshlrev_b32_e32 v161, 20, v161
	;; [unrolled: 1-line block ×3, first 2 shown]
	v_and_or_b32 v157, v157, s44, v156
	v_and_b32_e32 v161, 0x100000, v161
	v_and_b32_e32 v31, 0x10000000, v31
	v_or3_b32 v31, v161, v31, v157
	v_lshrrev_b32_e32 v157, 8, v157
	v_and_b32_e32 v156, 31, v156
	v_and_b32_e32 v157, 31, v157
	v_cvt_f16_u16_e32 v156, v156
	v_cvt_f16_u16_e32 v157, v157
	v_pack_b32_f16 v156, v156, v157
	v_and_b32_sdwa v157, v31, v152 dst_sel:DWORD dst_unused:UNUSED_PAD src0_sel:WORD_1 src1_sel:DWORD
	v_cvt_f16_u16_sdwa v31, v31 dst_sel:DWORD dst_unused:UNUSED_PAD src0_sel:BYTE_3
	v_cvt_f16_u16_e32 v157, v157
	v_mul_u32_u24_sdwa v161, v30, s51 dst_sel:DWORD dst_unused:UNUSED_PAD src0_sel:WORD_0 src1_sel:DWORD
	v_mul_u32_u24_sdwa v30, v30, s51 dst_sel:DWORD dst_unused:UNUSED_PAD src0_sel:WORD_1 src1_sel:DWORD
	v_pack_b32_f16 v31, v157, v31
	v_pk_fma_f16 v156, v156, v161, v30
	v_pk_fma_f16 v30, v31, v161, v30
	;; [unrolled: 1-line block ×4, first 2 shown]
	v_lshl_add_u64 v[30:31], v[28:29], 0, v[64:65]
	global_load_dword v30, v[30:31], off offset:8
	s_nop 0
	global_load_dwordx2 v[28:29], v[28:29], off
	s_waitcnt vmcnt(1)
	v_ashrrev_i32_e32 v30, v146, v30
	v_and_b32_e32 v30, 0xf0f0f0f, v30
	s_waitcnt vmcnt(0)
	v_lshrrev_b32_e32 v31, v145, v29
	v_lshlrev_b32_e32 v31, 4, v31
	v_and_or_b32 v30, v31, 16, v30
	v_lshrrev_b32_e32 v31, v147, v29
	v_lshrrev_b32_e32 v157, v148, v29
	;; [unrolled: 1-line block ×3, first 2 shown]
	v_lshlrev_b32_e32 v31, 12, v31
	v_lshlrev_b32_e32 v157, 20, v157
	;; [unrolled: 1-line block ×3, first 2 shown]
	v_and_or_b32 v31, v31, s44, v30
	v_and_b32_e32 v157, 0x100000, v157
	v_and_b32_e32 v29, 0x10000000, v29
	v_or3_b32 v29, v157, v29, v31
	v_lshrrev_b32_e32 v31, 8, v31
	v_and_b32_e32 v30, 31, v30
	v_and_b32_e32 v31, 31, v31
	v_cvt_f16_u16_e32 v30, v30
	v_cvt_f16_u16_e32 v31, v31
	v_pack_b32_f16 v30, v30, v31
	v_and_b32_sdwa v31, v29, v152 dst_sel:DWORD dst_unused:UNUSED_PAD src0_sel:WORD_1 src1_sel:DWORD
	v_cvt_f16_u16_sdwa v29, v29 dst_sel:DWORD dst_unused:UNUSED_PAD src0_sel:BYTE_3
	v_cvt_f16_u16_e32 v31, v31
	v_mul_u32_u24_sdwa v157, v28, s51 dst_sel:DWORD dst_unused:UNUSED_PAD src0_sel:WORD_0 src1_sel:DWORD
	v_mul_u32_u24_sdwa v28, v28, s51 dst_sel:DWORD dst_unused:UNUSED_PAD src0_sel:WORD_1 src1_sel:DWORD
	v_pack_b32_f16 v29, v31, v29
	v_pk_fma_f16 v30, v30, v157, v28
	v_pk_fma_f16 v28, v29, v157, v28
	;; [unrolled: 1-line block ×4, first 2 shown]
	v_mul_u32_u24_sdwa v159, v25, s51 dst_sel:DWORD dst_unused:UNUSED_PAD src0_sel:WORD_1 src1_sel:DWORD
	v_lshl_add_u64 v[24:25], s[20:21], 0, v[86:87]
	v_mad_u64_u32 v[28:29], s[12:13], v130, 24, v[24:25]
	v_lshl_add_u64 v[30:31], v[28:29], 0, v[62:63]
	global_load_dword v30, v[30:31], off offset:8
	v_mad_u64_u32 v[24:25], s[12:13], v128, 24, v[24:25]
	global_load_dwordx2 v[28:29], v[28:29], off
	s_waitcnt vmcnt(1)
	v_ashrrev_i32_e32 v30, v146, v30
	v_and_b32_e32 v30, 0xf0f0f0f, v30
	s_waitcnt vmcnt(0)
	v_lshrrev_b32_e32 v31, v145, v29
	v_lshlrev_b32_e32 v31, 4, v31
	v_and_or_b32 v30, v31, 16, v30
	v_lshrrev_b32_e32 v31, v147, v29
	v_lshrrev_b32_e32 v160, v148, v29
	;; [unrolled: 1-line block ×3, first 2 shown]
	v_lshlrev_b32_e32 v31, 12, v31
	v_lshlrev_b32_e32 v160, 20, v160
	;; [unrolled: 1-line block ×3, first 2 shown]
	v_and_or_b32 v31, v31, s44, v30
	v_and_b32_e32 v160, 0x100000, v160
	v_and_b32_e32 v29, 0x10000000, v29
	v_or3_b32 v29, v160, v29, v31
	v_lshrrev_b32_e32 v31, 8, v31
	v_and_b32_e32 v30, 31, v30
	v_and_b32_e32 v31, 31, v31
	v_cvt_f16_u16_e32 v30, v30
	v_cvt_f16_u16_e32 v31, v31
	v_pack_b32_f16 v30, v30, v31
	v_and_b32_sdwa v31, v29, v152 dst_sel:DWORD dst_unused:UNUSED_PAD src0_sel:WORD_1 src1_sel:DWORD
	v_cvt_f16_u16_sdwa v29, v29 dst_sel:DWORD dst_unused:UNUSED_PAD src0_sel:BYTE_3
	v_cvt_f16_u16_e32 v31, v31
	v_mul_u32_u24_sdwa v160, v28, s51 dst_sel:DWORD dst_unused:UNUSED_PAD src0_sel:WORD_0 src1_sel:DWORD
	v_mul_u32_u24_sdwa v28, v28, s51 dst_sel:DWORD dst_unused:UNUSED_PAD src0_sel:WORD_1 src1_sel:DWORD
	v_pack_b32_f16 v29, v31, v29
	v_pk_fma_f16 v30, v30, v160, v28
	v_pk_fma_f16 v28, v29, v160, v28
	;; [unrolled: 1-line block ×4, first 2 shown]
	v_lshl_add_u64 v[28:29], v[24:25], 0, v[64:65]
	global_load_dword v28, v[28:29], off offset:8
	s_nop 0
	global_load_dwordx2 v[24:25], v[24:25], off
	s_waitcnt vmcnt(1)
	v_ashrrev_i32_e32 v28, v146, v28
	v_and_b32_e32 v28, 0xf0f0f0f, v28
	s_waitcnt vmcnt(0)
	v_lshrrev_b32_e32 v29, v145, v25
	v_lshlrev_b32_e32 v29, 4, v29
	v_and_or_b32 v28, v29, 16, v28
	v_lshrrev_b32_e32 v29, v147, v25
	v_lshrrev_b32_e32 v30, v148, v25
	;; [unrolled: 1-line block ×3, first 2 shown]
	v_lshlrev_b32_e32 v29, 12, v29
	v_lshlrev_b32_e32 v30, 20, v30
	;; [unrolled: 1-line block ×3, first 2 shown]
	v_and_or_b32 v29, v29, s44, v28
	v_and_b32_e32 v30, 0x100000, v30
	v_and_b32_e32 v25, 0x10000000, v25
	v_or3_b32 v25, v30, v25, v29
	v_lshrrev_b32_e32 v29, 8, v29
	v_and_b32_e32 v28, 31, v28
	v_and_b32_e32 v29, 31, v29
	v_cvt_f16_u16_e32 v28, v28
	v_cvt_f16_u16_e32 v29, v29
	v_pack_b32_f16 v28, v28, v29
	v_and_b32_sdwa v29, v25, v152 dst_sel:DWORD dst_unused:UNUSED_PAD src0_sel:WORD_1 src1_sel:DWORD
	v_cvt_f16_u16_sdwa v25, v25 dst_sel:DWORD dst_unused:UNUSED_PAD src0_sel:BYTE_3
	v_cvt_f16_u16_e32 v29, v29
	v_mul_u32_u24_sdwa v30, v24, s51 dst_sel:DWORD dst_unused:UNUSED_PAD src0_sel:WORD_0 src1_sel:DWORD
	v_mul_u32_u24_sdwa v24, v24, s51 dst_sel:DWORD dst_unused:UNUSED_PAD src0_sel:WORD_1 src1_sel:DWORD
	v_pack_b32_f16 v25, v29, v25
	v_pk_fma_f16 v28, v28, v30, v24
	v_pk_fma_f16 v24, v25, v30, v24
	;; [unrolled: 1-line block ×4, first 2 shown]
	v_lshl_add_u64 v[24:25], s[20:21], 0, v[88:89]
	v_mad_u64_u32 v[28:29], s[12:13], v130, 24, v[24:25]
	v_lshl_add_u64 v[30:31], v[28:29], 0, v[62:63]
	global_load_dword v30, v[30:31], off offset:8
	v_mul_u32_u24_sdwa v159, v26, s51 dst_sel:DWORD dst_unused:UNUSED_PAD src0_sel:WORD_0 src1_sel:DWORD
	global_load_dwordx2 v[28:29], v[28:29], off
	v_mad_u64_u32 v[24:25], s[12:13], v128, 24, v[24:25]
	v_mul_u32_u24_sdwa v26, v26, s51 dst_sel:DWORD dst_unused:UNUSED_PAD src0_sel:WORD_1 src1_sel:DWORD
	s_waitcnt vmcnt(1)
	v_ashrrev_i32_e32 v30, v146, v30
	v_and_b32_e32 v30, 0xf0f0f0f, v30
	s_waitcnt vmcnt(0)
	v_lshrrev_b32_e32 v31, v145, v29
	v_lshlrev_b32_e32 v31, 4, v31
	v_and_or_b32 v30, v31, 16, v30
	v_lshrrev_b32_e32 v31, v147, v29
	v_lshrrev_b32_e32 v160, v148, v29
	;; [unrolled: 1-line block ×3, first 2 shown]
	v_lshlrev_b32_e32 v31, 12, v31
	v_lshlrev_b32_e32 v160, 20, v160
	;; [unrolled: 1-line block ×3, first 2 shown]
	v_and_or_b32 v31, v31, s44, v30
	v_and_b32_e32 v160, 0x100000, v160
	v_and_b32_e32 v29, 0x10000000, v29
	v_or3_b32 v29, v160, v29, v31
	v_lshrrev_b32_e32 v31, 8, v31
	v_and_b32_e32 v30, 31, v30
	v_and_b32_e32 v31, 31, v31
	v_cvt_f16_u16_e32 v30, v30
	v_cvt_f16_u16_e32 v31, v31
	v_pack_b32_f16 v30, v30, v31
	v_and_b32_sdwa v31, v29, v152 dst_sel:DWORD dst_unused:UNUSED_PAD src0_sel:WORD_1 src1_sel:DWORD
	v_cvt_f16_u16_sdwa v29, v29 dst_sel:DWORD dst_unused:UNUSED_PAD src0_sel:BYTE_3
	v_cvt_f16_u16_e32 v31, v31
	v_mul_u32_u24_sdwa v160, v28, s51 dst_sel:DWORD dst_unused:UNUSED_PAD src0_sel:WORD_0 src1_sel:DWORD
	v_mul_u32_u24_sdwa v28, v28, s51 dst_sel:DWORD dst_unused:UNUSED_PAD src0_sel:WORD_1 src1_sel:DWORD
	v_pack_b32_f16 v29, v31, v29
	v_pk_fma_f16 v30, v30, v160, v28
	v_pk_fma_f16 v28, v29, v160, v28
	;; [unrolled: 1-line block ×4, first 2 shown]
	v_lshl_add_u64 v[28:29], v[24:25], 0, v[64:65]
	global_load_dword v28, v[28:29], off offset:8
	s_nop 0
	global_load_dwordx2 v[24:25], v[24:25], off
	s_waitcnt vmcnt(1)
	v_ashrrev_i32_e32 v28, v146, v28
	v_and_b32_e32 v28, 0xf0f0f0f, v28
	s_waitcnt vmcnt(0)
	v_lshrrev_b32_e32 v29, v145, v25
	v_lshlrev_b32_e32 v29, 4, v29
	v_and_or_b32 v28, v29, 16, v28
	v_lshrrev_b32_e32 v29, v147, v25
	v_lshrrev_b32_e32 v30, v148, v25
	;; [unrolled: 1-line block ×3, first 2 shown]
	v_lshlrev_b32_e32 v29, 12, v29
	v_lshlrev_b32_e32 v30, 20, v30
	;; [unrolled: 1-line block ×3, first 2 shown]
	v_and_or_b32 v29, v29, s44, v28
	v_and_b32_e32 v30, 0x100000, v30
	v_and_b32_e32 v25, 0x10000000, v25
	v_or3_b32 v25, v30, v25, v29
	v_lshrrev_b32_e32 v29, 8, v29
	v_and_b32_e32 v28, 31, v28
	v_and_b32_e32 v29, 31, v29
	v_cvt_f16_u16_e32 v28, v28
	v_cvt_f16_u16_e32 v29, v29
	v_pack_b32_f16 v28, v28, v29
	v_and_b32_sdwa v29, v25, v152 dst_sel:DWORD dst_unused:UNUSED_PAD src0_sel:WORD_1 src1_sel:DWORD
	v_cvt_f16_u16_sdwa v25, v25 dst_sel:DWORD dst_unused:UNUSED_PAD src0_sel:BYTE_3
	v_cvt_f16_u16_e32 v29, v29
	v_mul_u32_u24_sdwa v30, v24, s51 dst_sel:DWORD dst_unused:UNUSED_PAD src0_sel:WORD_0 src1_sel:DWORD
	v_mul_u32_u24_sdwa v24, v24, s51 dst_sel:DWORD dst_unused:UNUSED_PAD src0_sel:WORD_1 src1_sel:DWORD
	v_pack_b32_f16 v25, v29, v25
	v_pk_fma_f16 v28, v28, v30, v24
	v_pk_fma_f16 v24, v25, v30, v24
	;; [unrolled: 1-line block ×4, first 2 shown]
	v_lshl_add_u64 v[24:25], s[20:21], 0, v[90:91]
	v_mad_u64_u32 v[28:29], s[12:13], v130, 24, v[24:25]
	v_lshl_add_u64 v[30:31], v[28:29], 0, v[62:63]
	global_load_dword v30, v[30:31], off offset:8
	v_mad_u64_u32 v[24:25], s[12:13], v128, 24, v[24:25]
	global_load_dwordx2 v[28:29], v[28:29], off
	s_waitcnt vmcnt(1)
	v_ashrrev_i32_e32 v30, v146, v30
	v_and_b32_e32 v30, 0xf0f0f0f, v30
	s_waitcnt vmcnt(0)
	v_lshrrev_b32_e32 v31, v145, v29
	v_lshlrev_b32_e32 v31, 4, v31
	v_and_or_b32 v30, v31, 16, v30
	v_lshrrev_b32_e32 v31, v147, v29
	v_lshrrev_b32_e32 v159, v148, v29
	v_lshrrev_b32_e32 v29, v149, v29
	v_lshlrev_b32_e32 v31, 12, v31
	v_lshlrev_b32_e32 v159, 20, v159
	;; [unrolled: 1-line block ×3, first 2 shown]
	v_and_or_b32 v31, v31, s44, v30
	v_and_b32_e32 v159, 0x100000, v159
	v_and_b32_e32 v29, 0x10000000, v29
	v_or3_b32 v29, v159, v29, v31
	v_lshrrev_b32_e32 v31, 8, v31
	v_and_b32_e32 v30, 31, v30
	v_and_b32_e32 v31, 31, v31
	v_cvt_f16_u16_e32 v30, v30
	v_cvt_f16_u16_e32 v31, v31
	v_pack_b32_f16 v30, v30, v31
	v_and_b32_sdwa v31, v29, v152 dst_sel:DWORD dst_unused:UNUSED_PAD src0_sel:WORD_1 src1_sel:DWORD
	v_cvt_f16_u16_sdwa v29, v29 dst_sel:DWORD dst_unused:UNUSED_PAD src0_sel:BYTE_3
	v_cvt_f16_u16_e32 v31, v31
	v_mul_u32_u24_sdwa v159, v28, s51 dst_sel:DWORD dst_unused:UNUSED_PAD src0_sel:WORD_0 src1_sel:DWORD
	v_mul_u32_u24_sdwa v28, v28, s51 dst_sel:DWORD dst_unused:UNUSED_PAD src0_sel:WORD_1 src1_sel:DWORD
	v_pack_b32_f16 v29, v31, v29
	v_pk_fma_f16 v30, v30, v159, v28
	v_pk_fma_f16 v28, v29, v159, v28
	;; [unrolled: 1-line block ×4, first 2 shown]
	v_lshl_add_u64 v[28:29], v[24:25], 0, v[64:65]
	global_load_dword v28, v[28:29], off offset:8
	s_nop 0
	global_load_dwordx2 v[24:25], v[24:25], off
	s_waitcnt vmcnt(1)
	v_ashrrev_i32_e32 v28, v146, v28
	v_and_b32_e32 v28, 0xf0f0f0f, v28
	s_waitcnt vmcnt(0)
	v_lshrrev_b32_e32 v29, v145, v25
	v_lshlrev_b32_e32 v29, 4, v29
	v_and_or_b32 v28, v29, 16, v28
	v_lshrrev_b32_e32 v29, v147, v25
	v_lshrrev_b32_e32 v30, v148, v25
	;; [unrolled: 1-line block ×3, first 2 shown]
	v_lshlrev_b32_e32 v29, 12, v29
	v_lshlrev_b32_e32 v30, 20, v30
	;; [unrolled: 1-line block ×3, first 2 shown]
	v_and_or_b32 v29, v29, s44, v28
	v_and_b32_e32 v30, 0x100000, v30
	v_and_b32_e32 v25, 0x10000000, v25
	v_or3_b32 v25, v30, v25, v29
	v_lshrrev_b32_e32 v29, 8, v29
	v_and_b32_e32 v28, 31, v28
	v_and_b32_e32 v29, 31, v29
	v_cvt_f16_u16_e32 v28, v28
	v_cvt_f16_u16_e32 v29, v29
	v_pack_b32_f16 v28, v28, v29
	v_and_b32_sdwa v29, v25, v152 dst_sel:DWORD dst_unused:UNUSED_PAD src0_sel:WORD_1 src1_sel:DWORD
	v_cvt_f16_u16_sdwa v25, v25 dst_sel:DWORD dst_unused:UNUSED_PAD src0_sel:BYTE_3
	v_cvt_f16_u16_e32 v29, v29
	v_mul_u32_u24_sdwa v30, v24, s51 dst_sel:DWORD dst_unused:UNUSED_PAD src0_sel:WORD_0 src1_sel:DWORD
	v_mul_u32_u24_sdwa v24, v24, s51 dst_sel:DWORD dst_unused:UNUSED_PAD src0_sel:WORD_1 src1_sel:DWORD
	v_pack_b32_f16 v25, v29, v25
	v_pk_fma_f16 v28, v28, v30, v24
	v_pk_fma_f16 v24, v25, v30, v24
	;; [unrolled: 1-line block ×4, first 2 shown]
	v_lshl_add_u64 v[24:25], s[20:21], 0, v[92:93]
	v_mad_u64_u32 v[28:29], s[12:13], v130, 24, v[24:25]
	v_lshl_add_u64 v[30:31], v[28:29], 0, v[62:63]
	global_load_dword v30, v[30:31], off offset:8
	v_mul_u32_u24_sdwa v158, v27, s51 dst_sel:DWORD dst_unused:UNUSED_PAD src0_sel:WORD_0 src1_sel:DWORD
	global_load_dwordx2 v[28:29], v[28:29], off
	v_mad_u64_u32 v[24:25], s[12:13], v128, 24, v[24:25]
	s_waitcnt vmcnt(1)
	v_ashrrev_i32_e32 v30, v146, v30
	v_and_b32_e32 v30, 0xf0f0f0f, v30
	s_waitcnt vmcnt(0)
	v_lshrrev_b32_e32 v31, v145, v29
	v_lshlrev_b32_e32 v31, 4, v31
	v_and_or_b32 v30, v31, 16, v30
	v_lshrrev_b32_e32 v31, v147, v29
	v_lshrrev_b32_e32 v159, v148, v29
	;; [unrolled: 1-line block ×3, first 2 shown]
	v_lshlrev_b32_e32 v31, 12, v31
	v_lshlrev_b32_e32 v159, 20, v159
	;; [unrolled: 1-line block ×3, first 2 shown]
	v_and_or_b32 v31, v31, s44, v30
	v_and_b32_e32 v159, 0x100000, v159
	v_and_b32_e32 v29, 0x10000000, v29
	v_or3_b32 v29, v159, v29, v31
	v_lshrrev_b32_e32 v31, 8, v31
	v_and_b32_e32 v30, 31, v30
	v_and_b32_e32 v31, 31, v31
	v_cvt_f16_u16_e32 v30, v30
	v_cvt_f16_u16_e32 v31, v31
	v_pack_b32_f16 v30, v30, v31
	v_and_b32_sdwa v31, v29, v152 dst_sel:DWORD dst_unused:UNUSED_PAD src0_sel:WORD_1 src1_sel:DWORD
	v_cvt_f16_u16_sdwa v29, v29 dst_sel:DWORD dst_unused:UNUSED_PAD src0_sel:BYTE_3
	v_cvt_f16_u16_e32 v31, v31
	v_mul_u32_u24_sdwa v159, v28, s51 dst_sel:DWORD dst_unused:UNUSED_PAD src0_sel:WORD_0 src1_sel:DWORD
	v_mul_u32_u24_sdwa v28, v28, s51 dst_sel:DWORD dst_unused:UNUSED_PAD src0_sel:WORD_1 src1_sel:DWORD
	v_pack_b32_f16 v29, v31, v29
	v_pk_fma_f16 v30, v30, v159, v28
	v_pk_fma_f16 v28, v29, v159, v28
	;; [unrolled: 1-line block ×4, first 2 shown]
	v_lshl_add_u64 v[28:29], v[24:25], 0, v[64:65]
	global_load_dword v28, v[28:29], off offset:8
	s_nop 0
	global_load_dwordx2 v[24:25], v[24:25], off
	s_waitcnt vmcnt(1)
	v_ashrrev_i32_e32 v28, v146, v28
	v_and_b32_e32 v28, 0xf0f0f0f, v28
	s_waitcnt vmcnt(0)
	v_lshrrev_b32_e32 v29, v145, v25
	v_lshlrev_b32_e32 v29, 4, v29
	v_and_or_b32 v28, v29, 16, v28
	v_lshrrev_b32_e32 v29, v147, v25
	v_lshrrev_b32_e32 v155, v148, v25
	;; [unrolled: 1-line block ×3, first 2 shown]
	v_lshlrev_b32_e32 v29, 12, v29
	v_lshlrev_b32_e32 v155, 20, v155
	;; [unrolled: 1-line block ×3, first 2 shown]
	v_and_or_b32 v29, v29, s44, v28
	v_and_b32_e32 v155, 0x100000, v155
	v_and_b32_e32 v25, 0x10000000, v25
	v_or3_b32 v25, v155, v25, v29
	v_lshrrev_b32_e32 v29, 8, v29
	v_and_b32_e32 v28, 31, v28
	v_and_b32_e32 v29, 31, v29
	v_cvt_f16_u16_e32 v28, v28
	v_cvt_f16_u16_e32 v29, v29
	v_pack_b32_f16 v28, v28, v29
	v_and_b32_sdwa v29, v25, v152 dst_sel:DWORD dst_unused:UNUSED_PAD src0_sel:WORD_1 src1_sel:DWORD
	v_cvt_f16_u16_sdwa v25, v25 dst_sel:DWORD dst_unused:UNUSED_PAD src0_sel:BYTE_3
	v_cvt_f16_u16_e32 v29, v29
	v_mul_u32_u24_sdwa v155, v24, s51 dst_sel:DWORD dst_unused:UNUSED_PAD src0_sel:WORD_0 src1_sel:DWORD
	v_mul_u32_u24_sdwa v24, v24, s51 dst_sel:DWORD dst_unused:UNUSED_PAD src0_sel:WORD_1 src1_sel:DWORD
	v_pack_b32_f16 v25, v29, v25
	v_pk_fma_f16 v28, v28, v155, v24
	v_pk_fma_f16 v24, v25, v155, v24
	;; [unrolled: 1-line block ×4, first 2 shown]
	v_lshl_add_u64 v[24:25], s[20:21], 0, v[94:95]
	v_mul_u32_u24_sdwa v157, v27, s51 dst_sel:DWORD dst_unused:UNUSED_PAD src0_sel:WORD_1 src1_sel:DWORD
	v_mad_u64_u32 v[26:27], s[12:13], v130, 24, v[24:25]
	v_lshl_add_u64 v[28:29], v[26:27], 0, v[62:63]
	global_load_dword v28, v[28:29], off offset:8
	v_mad_u64_u32 v[24:25], s[12:13], v128, 24, v[24:25]
	global_load_dwordx2 v[26:27], v[26:27], off
	s_waitcnt vmcnt(1)
	v_ashrrev_i32_e32 v28, v146, v28
	v_and_b32_e32 v28, 0xf0f0f0f, v28
	s_waitcnt vmcnt(0)
	v_lshrrev_b32_e32 v29, v145, v27
	v_lshlrev_b32_e32 v29, 4, v29
	v_and_or_b32 v28, v29, 16, v28
	v_lshrrev_b32_e32 v29, v147, v27
	v_lshrrev_b32_e32 v158, v148, v27
	;; [unrolled: 1-line block ×3, first 2 shown]
	v_lshlrev_b32_e32 v29, 12, v29
	v_lshlrev_b32_e32 v158, 20, v158
	;; [unrolled: 1-line block ×3, first 2 shown]
	v_and_or_b32 v29, v29, s44, v28
	v_and_b32_e32 v158, 0x100000, v158
	v_and_b32_e32 v27, 0x10000000, v27
	v_or3_b32 v27, v158, v27, v29
	v_lshrrev_b32_e32 v29, 8, v29
	v_and_b32_e32 v28, 31, v28
	v_and_b32_e32 v29, 31, v29
	v_cvt_f16_u16_e32 v28, v28
	v_cvt_f16_u16_e32 v29, v29
	v_pack_b32_f16 v28, v28, v29
	v_and_b32_sdwa v29, v27, v152 dst_sel:DWORD dst_unused:UNUSED_PAD src0_sel:WORD_1 src1_sel:DWORD
	v_cvt_f16_u16_sdwa v27, v27 dst_sel:DWORD dst_unused:UNUSED_PAD src0_sel:BYTE_3
	v_cvt_f16_u16_e32 v29, v29
	v_mul_u32_u24_sdwa v158, v26, s51 dst_sel:DWORD dst_unused:UNUSED_PAD src0_sel:WORD_0 src1_sel:DWORD
	v_mul_u32_u24_sdwa v26, v26, s51 dst_sel:DWORD dst_unused:UNUSED_PAD src0_sel:WORD_1 src1_sel:DWORD
	v_pack_b32_f16 v27, v29, v27
	v_pk_fma_f16 v28, v28, v158, v26
	v_pk_fma_f16 v26, v27, v158, v26
	;; [unrolled: 1-line block ×4, first 2 shown]
	v_lshl_add_u64 v[26:27], v[24:25], 0, v[64:65]
	global_load_dword v26, v[26:27], off offset:8
	s_nop 0
	global_load_dwordx2 v[24:25], v[24:25], off
	s_waitcnt vmcnt(1)
	v_ashrrev_i32_e32 v26, v146, v26
	v_and_b32_e32 v26, 0xf0f0f0f, v26
	s_waitcnt vmcnt(0)
	v_lshrrev_b32_e32 v27, v145, v25
	v_lshlrev_b32_e32 v27, 4, v27
	v_and_or_b32 v26, v27, 16, v26
	v_lshrrev_b32_e32 v27, v147, v25
	v_lshrrev_b32_e32 v28, v148, v25
	;; [unrolled: 1-line block ×3, first 2 shown]
	v_lshlrev_b32_e32 v27, 12, v27
	v_lshlrev_b32_e32 v28, 20, v28
	;; [unrolled: 1-line block ×3, first 2 shown]
	v_and_or_b32 v27, v27, s44, v26
	v_and_b32_e32 v28, 0x100000, v28
	v_and_b32_e32 v25, 0x10000000, v25
	v_or3_b32 v25, v28, v25, v27
	v_lshrrev_b32_e32 v27, 8, v27
	v_and_b32_e32 v26, 31, v26
	v_and_b32_e32 v27, 31, v27
	v_cvt_f16_u16_e32 v26, v26
	v_cvt_f16_u16_e32 v27, v27
	v_pack_b32_f16 v26, v26, v27
	v_and_b32_sdwa v27, v25, v152 dst_sel:DWORD dst_unused:UNUSED_PAD src0_sel:WORD_1 src1_sel:DWORD
	v_cvt_f16_u16_sdwa v25, v25 dst_sel:DWORD dst_unused:UNUSED_PAD src0_sel:BYTE_3
	v_cvt_f16_u16_e32 v27, v27
	v_mul_u32_u24_sdwa v28, v24, s51 dst_sel:DWORD dst_unused:UNUSED_PAD src0_sel:WORD_0 src1_sel:DWORD
	v_mul_u32_u24_sdwa v24, v24, s51 dst_sel:DWORD dst_unused:UNUSED_PAD src0_sel:WORD_1 src1_sel:DWORD
	v_pack_b32_f16 v25, v27, v25
	v_pk_fma_f16 v26, v26, v28, v24
	v_pk_fma_f16 v24, v25, v28, v24
	;; [unrolled: 1-line block ×4, first 2 shown]
	v_lshl_add_u64 v[24:25], s[20:21], 0, v[96:97]
	v_mad_u64_u32 v[26:27], s[12:13], v130, 24, v[24:25]
	v_lshl_add_u64 v[28:29], v[26:27], 0, v[62:63]
	global_load_dword v28, v[28:29], off offset:8
	s_waitcnt lgkmcnt(1)
	v_mul_u32_u24_sdwa v157, v20, s51 dst_sel:DWORD dst_unused:UNUSED_PAD src0_sel:WORD_0 src1_sel:DWORD
	global_load_dwordx2 v[26:27], v[26:27], off
	v_mad_u64_u32 v[24:25], s[12:13], v128, 24, v[24:25]
	v_mul_u32_u24_sdwa v20, v20, s51 dst_sel:DWORD dst_unused:UNUSED_PAD src0_sel:WORD_1 src1_sel:DWORD
	s_waitcnt vmcnt(1)
	v_ashrrev_i32_e32 v28, v146, v28
	v_and_b32_e32 v28, 0xf0f0f0f, v28
	s_waitcnt vmcnt(0)
	v_lshrrev_b32_e32 v29, v145, v27
	v_lshlrev_b32_e32 v29, 4, v29
	v_and_or_b32 v28, v29, 16, v28
	v_lshrrev_b32_e32 v29, v147, v27
	v_lshrrev_b32_e32 v158, v148, v27
	;; [unrolled: 1-line block ×3, first 2 shown]
	v_lshlrev_b32_e32 v29, 12, v29
	v_lshlrev_b32_e32 v158, 20, v158
	;; [unrolled: 1-line block ×3, first 2 shown]
	v_and_or_b32 v29, v29, s44, v28
	v_and_b32_e32 v158, 0x100000, v158
	v_and_b32_e32 v27, 0x10000000, v27
	v_or3_b32 v27, v158, v27, v29
	v_lshrrev_b32_e32 v29, 8, v29
	v_and_b32_e32 v28, 31, v28
	v_and_b32_e32 v29, 31, v29
	v_cvt_f16_u16_e32 v28, v28
	v_cvt_f16_u16_e32 v29, v29
	v_pack_b32_f16 v28, v28, v29
	v_and_b32_sdwa v29, v27, v152 dst_sel:DWORD dst_unused:UNUSED_PAD src0_sel:WORD_1 src1_sel:DWORD
	v_cvt_f16_u16_sdwa v27, v27 dst_sel:DWORD dst_unused:UNUSED_PAD src0_sel:BYTE_3
	v_cvt_f16_u16_e32 v29, v29
	v_mul_u32_u24_sdwa v158, v26, s51 dst_sel:DWORD dst_unused:UNUSED_PAD src0_sel:WORD_0 src1_sel:DWORD
	v_mul_u32_u24_sdwa v26, v26, s51 dst_sel:DWORD dst_unused:UNUSED_PAD src0_sel:WORD_1 src1_sel:DWORD
	v_pack_b32_f16 v27, v29, v27
	v_pk_fma_f16 v28, v28, v158, v26
	v_pk_fma_f16 v26, v27, v158, v26
	v_pk_fma_f16 v30, v28, v157, v30
	v_pk_fma_f16 v31, v26, v157, v31
	v_lshl_add_u64 v[26:27], v[24:25], 0, v[64:65]
	global_load_dword v26, v[26:27], off offset:8
	s_nop 0
	global_load_dwordx2 v[24:25], v[24:25], off
	s_waitcnt vmcnt(1)
	v_ashrrev_i32_e32 v26, v146, v26
	v_and_b32_e32 v26, 0xf0f0f0f, v26
	s_waitcnt vmcnt(0)
	v_lshrrev_b32_e32 v27, v145, v25
	v_lshlrev_b32_e32 v27, 4, v27
	v_and_or_b32 v26, v27, 16, v26
	v_lshrrev_b32_e32 v27, v147, v25
	v_lshrrev_b32_e32 v28, v148, v25
	;; [unrolled: 1-line block ×3, first 2 shown]
	v_lshlrev_b32_e32 v27, 12, v27
	v_lshlrev_b32_e32 v28, 20, v28
	;; [unrolled: 1-line block ×3, first 2 shown]
	v_and_or_b32 v27, v27, s44, v26
	v_and_b32_e32 v28, 0x100000, v28
	v_and_b32_e32 v25, 0x10000000, v25
	v_or3_b32 v25, v28, v25, v27
	v_lshrrev_b32_e32 v27, 8, v27
	v_and_b32_e32 v26, 31, v26
	v_and_b32_e32 v27, 31, v27
	v_cvt_f16_u16_e32 v26, v26
	v_cvt_f16_u16_e32 v27, v27
	v_pack_b32_f16 v26, v26, v27
	v_and_b32_sdwa v27, v25, v152 dst_sel:DWORD dst_unused:UNUSED_PAD src0_sel:WORD_1 src1_sel:DWORD
	v_cvt_f16_u16_sdwa v25, v25 dst_sel:DWORD dst_unused:UNUSED_PAD src0_sel:BYTE_3
	v_cvt_f16_u16_e32 v27, v27
	v_mul_u32_u24_sdwa v28, v24, s51 dst_sel:DWORD dst_unused:UNUSED_PAD src0_sel:WORD_0 src1_sel:DWORD
	v_mul_u32_u24_sdwa v24, v24, s51 dst_sel:DWORD dst_unused:UNUSED_PAD src0_sel:WORD_1 src1_sel:DWORD
	v_pack_b32_f16 v25, v27, v25
	v_pk_fma_f16 v26, v26, v28, v24
	v_pk_fma_f16 v24, v25, v28, v24
	;; [unrolled: 1-line block ×4, first 2 shown]
	v_lshl_add_u64 v[24:25], s[20:21], 0, v[98:99]
	v_mad_u64_u32 v[26:27], s[12:13], v130, 24, v[24:25]
	v_lshl_add_u64 v[28:29], v[26:27], 0, v[62:63]
	global_load_dword v28, v[28:29], off offset:8
	v_mad_u64_u32 v[24:25], s[12:13], v128, 24, v[24:25]
	global_load_dwordx2 v[26:27], v[26:27], off
	s_waitcnt vmcnt(1)
	v_ashrrev_i32_e32 v28, v146, v28
	v_and_b32_e32 v28, 0xf0f0f0f, v28
	s_waitcnt vmcnt(0)
	v_lshrrev_b32_e32 v29, v145, v27
	v_lshlrev_b32_e32 v29, 4, v29
	v_and_or_b32 v28, v29, 16, v28
	v_lshrrev_b32_e32 v29, v147, v27
	v_lshrrev_b32_e32 v157, v148, v27
	;; [unrolled: 1-line block ×3, first 2 shown]
	v_lshlrev_b32_e32 v29, 12, v29
	v_lshlrev_b32_e32 v157, 20, v157
	;; [unrolled: 1-line block ×3, first 2 shown]
	v_and_or_b32 v29, v29, s44, v28
	v_and_b32_e32 v157, 0x100000, v157
	v_and_b32_e32 v27, 0x10000000, v27
	v_or3_b32 v27, v157, v27, v29
	v_lshrrev_b32_e32 v29, 8, v29
	v_and_b32_e32 v28, 31, v28
	v_and_b32_e32 v29, 31, v29
	v_cvt_f16_u16_e32 v28, v28
	v_cvt_f16_u16_e32 v29, v29
	v_pack_b32_f16 v28, v28, v29
	v_and_b32_sdwa v29, v27, v152 dst_sel:DWORD dst_unused:UNUSED_PAD src0_sel:WORD_1 src1_sel:DWORD
	v_cvt_f16_u16_sdwa v27, v27 dst_sel:DWORD dst_unused:UNUSED_PAD src0_sel:BYTE_3
	v_cvt_f16_u16_e32 v29, v29
	v_mul_u32_u24_sdwa v157, v26, s51 dst_sel:DWORD dst_unused:UNUSED_PAD src0_sel:WORD_0 src1_sel:DWORD
	v_mul_u32_u24_sdwa v26, v26, s51 dst_sel:DWORD dst_unused:UNUSED_PAD src0_sel:WORD_1 src1_sel:DWORD
	v_pack_b32_f16 v27, v29, v27
	v_pk_fma_f16 v28, v28, v157, v26
	v_pk_fma_f16 v26, v27, v157, v26
	;; [unrolled: 1-line block ×4, first 2 shown]
	v_lshl_add_u64 v[26:27], v[24:25], 0, v[64:65]
	global_load_dword v26, v[26:27], off offset:8
	s_nop 0
	global_load_dwordx2 v[24:25], v[24:25], off
	s_waitcnt vmcnt(1)
	v_ashrrev_i32_e32 v26, v146, v26
	v_and_b32_e32 v26, 0xf0f0f0f, v26
	s_waitcnt vmcnt(0)
	v_lshrrev_b32_e32 v27, v145, v25
	v_lshlrev_b32_e32 v27, 4, v27
	v_and_or_b32 v26, v27, 16, v26
	v_lshrrev_b32_e32 v27, v147, v25
	v_lshrrev_b32_e32 v28, v148, v25
	;; [unrolled: 1-line block ×3, first 2 shown]
	v_lshlrev_b32_e32 v27, 12, v27
	v_lshlrev_b32_e32 v28, 20, v28
	v_lshlrev_b32_e32 v25, 28, v25
	v_and_or_b32 v27, v27, s44, v26
	v_and_b32_e32 v28, 0x100000, v28
	v_and_b32_e32 v25, 0x10000000, v25
	v_or3_b32 v25, v28, v25, v27
	v_lshrrev_b32_e32 v27, 8, v27
	v_and_b32_e32 v26, 31, v26
	v_and_b32_e32 v27, 31, v27
	v_cvt_f16_u16_e32 v26, v26
	v_cvt_f16_u16_e32 v27, v27
	v_pack_b32_f16 v26, v26, v27
	v_and_b32_sdwa v27, v25, v152 dst_sel:DWORD dst_unused:UNUSED_PAD src0_sel:WORD_1 src1_sel:DWORD
	v_cvt_f16_u16_sdwa v25, v25 dst_sel:DWORD dst_unused:UNUSED_PAD src0_sel:BYTE_3
	v_cvt_f16_u16_e32 v27, v27
	v_mul_u32_u24_sdwa v28, v24, s51 dst_sel:DWORD dst_unused:UNUSED_PAD src0_sel:WORD_0 src1_sel:DWORD
	v_mul_u32_u24_sdwa v24, v24, s51 dst_sel:DWORD dst_unused:UNUSED_PAD src0_sel:WORD_1 src1_sel:DWORD
	v_pack_b32_f16 v25, v27, v25
	v_pk_fma_f16 v26, v26, v28, v24
	v_pk_fma_f16 v24, v25, v28, v24
	v_pk_fma_f16 v155, v26, v20, v155
	v_pk_fma_f16 v20, v24, v20, v156
	v_lshl_add_u64 v[24:25], s[20:21], 0, v[100:101]
	v_mad_u64_u32 v[26:27], s[12:13], v130, 24, v[24:25]
	v_lshl_add_u64 v[28:29], v[26:27], 0, v[62:63]
	global_load_dword v28, v[28:29], off offset:8
	v_mul_u32_u24_sdwa v156, v21, s51 dst_sel:DWORD dst_unused:UNUSED_PAD src0_sel:WORD_0 src1_sel:DWORD
	global_load_dwordx2 v[26:27], v[26:27], off
	v_mad_u64_u32 v[24:25], s[12:13], v128, 24, v[24:25]
	s_waitcnt vmcnt(1)
	v_ashrrev_i32_e32 v28, v146, v28
	v_and_b32_e32 v28, 0xf0f0f0f, v28
	s_waitcnt vmcnt(0)
	v_lshrrev_b32_e32 v29, v145, v27
	v_lshlrev_b32_e32 v29, 4, v29
	v_and_or_b32 v28, v29, 16, v28
	v_lshrrev_b32_e32 v29, v147, v27
	v_lshrrev_b32_e32 v157, v148, v27
	;; [unrolled: 1-line block ×3, first 2 shown]
	v_lshlrev_b32_e32 v29, 12, v29
	v_lshlrev_b32_e32 v157, 20, v157
	;; [unrolled: 1-line block ×3, first 2 shown]
	v_and_or_b32 v29, v29, s44, v28
	v_and_b32_e32 v157, 0x100000, v157
	v_and_b32_e32 v27, 0x10000000, v27
	v_or3_b32 v27, v157, v27, v29
	v_lshrrev_b32_e32 v29, 8, v29
	v_and_b32_e32 v28, 31, v28
	v_and_b32_e32 v29, 31, v29
	v_cvt_f16_u16_e32 v28, v28
	v_cvt_f16_u16_e32 v29, v29
	v_pack_b32_f16 v28, v28, v29
	v_and_b32_sdwa v29, v27, v152 dst_sel:DWORD dst_unused:UNUSED_PAD src0_sel:WORD_1 src1_sel:DWORD
	v_cvt_f16_u16_sdwa v27, v27 dst_sel:DWORD dst_unused:UNUSED_PAD src0_sel:BYTE_3
	v_cvt_f16_u16_e32 v29, v29
	v_mul_u32_u24_sdwa v157, v26, s51 dst_sel:DWORD dst_unused:UNUSED_PAD src0_sel:WORD_0 src1_sel:DWORD
	v_mul_u32_u24_sdwa v26, v26, s51 dst_sel:DWORD dst_unused:UNUSED_PAD src0_sel:WORD_1 src1_sel:DWORD
	v_pack_b32_f16 v27, v29, v27
	v_pk_fma_f16 v28, v28, v157, v26
	v_pk_fma_f16 v26, v27, v157, v26
	;; [unrolled: 1-line block ×4, first 2 shown]
	v_lshl_add_u64 v[26:27], v[24:25], 0, v[64:65]
	global_load_dword v26, v[26:27], off offset:8
	s_nop 0
	global_load_dwordx2 v[24:25], v[24:25], off
	s_waitcnt vmcnt(1)
	v_ashrrev_i32_e32 v26, v146, v26
	v_and_b32_e32 v26, 0xf0f0f0f, v26
	s_waitcnt vmcnt(0)
	v_lshrrev_b32_e32 v27, v145, v25
	v_lshlrev_b32_e32 v27, 4, v27
	v_and_or_b32 v26, v27, 16, v26
	v_lshrrev_b32_e32 v27, v147, v25
	v_lshrrev_b32_e32 v30, v148, v25
	;; [unrolled: 1-line block ×3, first 2 shown]
	v_lshlrev_b32_e32 v27, 12, v27
	v_lshlrev_b32_e32 v30, 20, v30
	v_lshlrev_b32_e32 v25, 28, v25
	v_and_or_b32 v27, v27, s44, v26
	v_and_b32_e32 v30, 0x100000, v30
	v_and_b32_e32 v25, 0x10000000, v25
	v_or3_b32 v25, v30, v25, v27
	v_lshrrev_b32_e32 v27, 8, v27
	v_and_b32_e32 v26, 31, v26
	v_and_b32_e32 v27, 31, v27
	v_cvt_f16_u16_e32 v26, v26
	v_cvt_f16_u16_e32 v27, v27
	v_pack_b32_f16 v26, v26, v27
	v_and_b32_sdwa v27, v25, v152 dst_sel:DWORD dst_unused:UNUSED_PAD src0_sel:WORD_1 src1_sel:DWORD
	v_cvt_f16_u16_sdwa v25, v25 dst_sel:DWORD dst_unused:UNUSED_PAD src0_sel:BYTE_3
	v_cvt_f16_u16_e32 v27, v27
	v_mul_u32_u24_sdwa v30, v24, s51 dst_sel:DWORD dst_unused:UNUSED_PAD src0_sel:WORD_0 src1_sel:DWORD
	v_mul_u32_u24_sdwa v24, v24, s51 dst_sel:DWORD dst_unused:UNUSED_PAD src0_sel:WORD_1 src1_sel:DWORD
	v_pack_b32_f16 v25, v27, v25
	v_pk_fma_f16 v26, v26, v30, v24
	v_pk_fma_f16 v24, v25, v30, v24
	;; [unrolled: 1-line block ×4, first 2 shown]
	v_mul_u32_u24_sdwa v155, v21, s51 dst_sel:DWORD dst_unused:UNUSED_PAD src0_sel:WORD_1 src1_sel:DWORD
	v_lshl_add_u64 v[20:21], s[20:21], 0, v[102:103]
	v_mad_u64_u32 v[24:25], s[12:13], v130, 24, v[20:21]
	v_lshl_add_u64 v[26:27], v[24:25], 0, v[62:63]
	global_load_dword v26, v[26:27], off offset:8
	v_mad_u64_u32 v[20:21], s[12:13], v128, 24, v[20:21]
	global_load_dwordx2 v[24:25], v[24:25], off
	s_waitcnt vmcnt(1)
	v_ashrrev_i32_e32 v26, v146, v26
	v_and_b32_e32 v26, 0xf0f0f0f, v26
	s_waitcnt vmcnt(0)
	v_lshrrev_b32_e32 v27, v145, v25
	v_lshlrev_b32_e32 v27, 4, v27
	v_and_or_b32 v26, v27, 16, v26
	v_lshrrev_b32_e32 v27, v147, v25
	v_lshrrev_b32_e32 v156, v148, v25
	v_lshrrev_b32_e32 v25, v149, v25
	v_lshlrev_b32_e32 v27, 12, v27
	v_lshlrev_b32_e32 v156, 20, v156
	;; [unrolled: 1-line block ×3, first 2 shown]
	v_and_or_b32 v27, v27, s44, v26
	v_and_b32_e32 v156, 0x100000, v156
	v_and_b32_e32 v25, 0x10000000, v25
	v_or3_b32 v25, v156, v25, v27
	v_lshrrev_b32_e32 v27, 8, v27
	v_and_b32_e32 v26, 31, v26
	v_and_b32_e32 v27, 31, v27
	v_cvt_f16_u16_e32 v26, v26
	v_cvt_f16_u16_e32 v27, v27
	v_pack_b32_f16 v26, v26, v27
	v_and_b32_sdwa v27, v25, v152 dst_sel:DWORD dst_unused:UNUSED_PAD src0_sel:WORD_1 src1_sel:DWORD
	v_cvt_f16_u16_sdwa v25, v25 dst_sel:DWORD dst_unused:UNUSED_PAD src0_sel:BYTE_3
	v_cvt_f16_u16_e32 v27, v27
	v_mul_u32_u24_sdwa v156, v24, s51 dst_sel:DWORD dst_unused:UNUSED_PAD src0_sel:WORD_0 src1_sel:DWORD
	v_mul_u32_u24_sdwa v24, v24, s51 dst_sel:DWORD dst_unused:UNUSED_PAD src0_sel:WORD_1 src1_sel:DWORD
	v_pack_b32_f16 v25, v27, v25
	v_pk_fma_f16 v26, v26, v156, v24
	v_pk_fma_f16 v24, v25, v156, v24
	;; [unrolled: 1-line block ×4, first 2 shown]
	v_lshl_add_u64 v[24:25], v[20:21], 0, v[64:65]
	global_load_dword v24, v[24:25], off offset:8
	s_nop 0
	global_load_dwordx2 v[20:21], v[20:21], off
	s_waitcnt vmcnt(1)
	v_ashrrev_i32_e32 v24, v146, v24
	v_and_b32_e32 v24, 0xf0f0f0f, v24
	s_waitcnt vmcnt(0)
	v_lshrrev_b32_e32 v25, v145, v21
	v_lshlrev_b32_e32 v25, 4, v25
	v_and_or_b32 v24, v25, 16, v24
	v_lshrrev_b32_e32 v25, v147, v21
	v_lshrrev_b32_e32 v26, v148, v21
	;; [unrolled: 1-line block ×3, first 2 shown]
	v_lshlrev_b32_e32 v25, 12, v25
	v_lshlrev_b32_e32 v26, 20, v26
	;; [unrolled: 1-line block ×3, first 2 shown]
	v_and_or_b32 v25, v25, s44, v24
	v_and_b32_e32 v26, 0x100000, v26
	v_and_b32_e32 v21, 0x10000000, v21
	v_or3_b32 v21, v26, v21, v25
	v_lshrrev_b32_e32 v25, 8, v25
	v_and_b32_e32 v24, 31, v24
	v_and_b32_e32 v25, 31, v25
	v_cvt_f16_u16_e32 v24, v24
	v_cvt_f16_u16_e32 v25, v25
	v_pack_b32_f16 v24, v24, v25
	v_and_b32_sdwa v25, v21, v152 dst_sel:DWORD dst_unused:UNUSED_PAD src0_sel:WORD_1 src1_sel:DWORD
	v_cvt_f16_u16_sdwa v21, v21 dst_sel:DWORD dst_unused:UNUSED_PAD src0_sel:BYTE_3
	v_cvt_f16_u16_e32 v25, v25
	v_mul_u32_u24_sdwa v26, v20, s51 dst_sel:DWORD dst_unused:UNUSED_PAD src0_sel:WORD_0 src1_sel:DWORD
	v_mul_u32_u24_sdwa v20, v20, s51 dst_sel:DWORD dst_unused:UNUSED_PAD src0_sel:WORD_1 src1_sel:DWORD
	v_pack_b32_f16 v21, v25, v21
	v_pk_fma_f16 v24, v24, v26, v20
	v_pk_fma_f16 v20, v21, v26, v20
	;; [unrolled: 1-line block ×4, first 2 shown]
	v_lshl_add_u64 v[20:21], s[20:21], 0, v[104:105]
	v_mad_u64_u32 v[24:25], s[12:13], v130, 24, v[20:21]
	v_lshl_add_u64 v[26:27], v[24:25], 0, v[62:63]
	global_load_dword v26, v[26:27], off offset:8
	v_mul_u32_u24_sdwa v155, v22, s51 dst_sel:DWORD dst_unused:UNUSED_PAD src0_sel:WORD_0 src1_sel:DWORD
	global_load_dwordx2 v[24:25], v[24:25], off
	v_mad_u64_u32 v[20:21], s[12:13], v128, 24, v[20:21]
	v_mul_u32_u24_sdwa v22, v22, s51 dst_sel:DWORD dst_unused:UNUSED_PAD src0_sel:WORD_1 src1_sel:DWORD
	s_waitcnt vmcnt(1)
	v_ashrrev_i32_e32 v26, v146, v26
	v_and_b32_e32 v26, 0xf0f0f0f, v26
	s_waitcnt vmcnt(0)
	v_lshrrev_b32_e32 v27, v145, v25
	v_lshlrev_b32_e32 v27, 4, v27
	v_and_or_b32 v26, v27, 16, v26
	v_lshrrev_b32_e32 v27, v147, v25
	v_lshrrev_b32_e32 v156, v148, v25
	;; [unrolled: 1-line block ×3, first 2 shown]
	v_lshlrev_b32_e32 v27, 12, v27
	v_lshlrev_b32_e32 v156, 20, v156
	;; [unrolled: 1-line block ×3, first 2 shown]
	v_and_or_b32 v27, v27, s44, v26
	v_and_b32_e32 v156, 0x100000, v156
	v_and_b32_e32 v25, 0x10000000, v25
	v_or3_b32 v25, v156, v25, v27
	v_lshrrev_b32_e32 v27, 8, v27
	v_and_b32_e32 v26, 31, v26
	v_and_b32_e32 v27, 31, v27
	v_cvt_f16_u16_e32 v26, v26
	v_cvt_f16_u16_e32 v27, v27
	v_pack_b32_f16 v26, v26, v27
	v_and_b32_sdwa v27, v25, v152 dst_sel:DWORD dst_unused:UNUSED_PAD src0_sel:WORD_1 src1_sel:DWORD
	v_cvt_f16_u16_sdwa v25, v25 dst_sel:DWORD dst_unused:UNUSED_PAD src0_sel:BYTE_3
	v_cvt_f16_u16_e32 v27, v27
	v_mul_u32_u24_sdwa v156, v24, s51 dst_sel:DWORD dst_unused:UNUSED_PAD src0_sel:WORD_0 src1_sel:DWORD
	v_mul_u32_u24_sdwa v24, v24, s51 dst_sel:DWORD dst_unused:UNUSED_PAD src0_sel:WORD_1 src1_sel:DWORD
	v_pack_b32_f16 v25, v27, v25
	v_pk_fma_f16 v26, v26, v156, v24
	v_pk_fma_f16 v24, v25, v156, v24
	;; [unrolled: 1-line block ×4, first 2 shown]
	v_lshl_add_u64 v[24:25], v[20:21], 0, v[64:65]
	global_load_dword v24, v[24:25], off offset:8
	s_nop 0
	global_load_dwordx2 v[20:21], v[20:21], off
	s_waitcnt vmcnt(1)
	v_ashrrev_i32_e32 v24, v146, v24
	v_and_b32_e32 v24, 0xf0f0f0f, v24
	s_waitcnt vmcnt(0)
	v_lshrrev_b32_e32 v25, v145, v21
	v_lshlrev_b32_e32 v25, 4, v25
	v_and_or_b32 v24, v25, 16, v24
	v_lshrrev_b32_e32 v25, v147, v21
	v_lshrrev_b32_e32 v26, v148, v21
	;; [unrolled: 1-line block ×3, first 2 shown]
	v_lshlrev_b32_e32 v25, 12, v25
	v_lshlrev_b32_e32 v26, 20, v26
	v_lshlrev_b32_e32 v21, 28, v21
	v_and_or_b32 v25, v25, s44, v24
	v_and_b32_e32 v26, 0x100000, v26
	v_and_b32_e32 v21, 0x10000000, v21
	v_or3_b32 v21, v26, v21, v25
	v_lshrrev_b32_e32 v25, 8, v25
	v_and_b32_e32 v24, 31, v24
	v_and_b32_e32 v25, 31, v25
	v_cvt_f16_u16_e32 v24, v24
	v_cvt_f16_u16_e32 v25, v25
	v_pack_b32_f16 v24, v24, v25
	v_and_b32_sdwa v25, v21, v152 dst_sel:DWORD dst_unused:UNUSED_PAD src0_sel:WORD_1 src1_sel:DWORD
	v_cvt_f16_u16_sdwa v21, v21 dst_sel:DWORD dst_unused:UNUSED_PAD src0_sel:BYTE_3
	v_cvt_f16_u16_e32 v25, v25
	v_mul_u32_u24_sdwa v26, v20, s51 dst_sel:DWORD dst_unused:UNUSED_PAD src0_sel:WORD_0 src1_sel:DWORD
	v_mul_u32_u24_sdwa v20, v20, s51 dst_sel:DWORD dst_unused:UNUSED_PAD src0_sel:WORD_1 src1_sel:DWORD
	v_pack_b32_f16 v21, v25, v21
	v_pk_fma_f16 v24, v24, v26, v20
	v_pk_fma_f16 v20, v21, v26, v20
	;; [unrolled: 1-line block ×4, first 2 shown]
	v_lshl_add_u64 v[20:21], s[20:21], 0, v[106:107]
	v_mad_u64_u32 v[24:25], s[12:13], v130, 24, v[20:21]
	v_lshl_add_u64 v[26:27], v[24:25], 0, v[62:63]
	global_load_dword v26, v[26:27], off offset:8
	v_mad_u64_u32 v[20:21], s[12:13], v128, 24, v[20:21]
	global_load_dwordx2 v[24:25], v[24:25], off
	s_waitcnt vmcnt(1)
	v_ashrrev_i32_e32 v26, v146, v26
	v_and_b32_e32 v26, 0xf0f0f0f, v26
	s_waitcnt vmcnt(0)
	v_lshrrev_b32_e32 v27, v145, v25
	v_lshlrev_b32_e32 v27, 4, v27
	v_and_or_b32 v26, v27, 16, v26
	v_lshrrev_b32_e32 v27, v147, v25
	v_lshrrev_b32_e32 v155, v148, v25
	;; [unrolled: 1-line block ×3, first 2 shown]
	v_lshlrev_b32_e32 v27, 12, v27
	v_lshlrev_b32_e32 v155, 20, v155
	;; [unrolled: 1-line block ×3, first 2 shown]
	v_and_or_b32 v27, v27, s44, v26
	v_and_b32_e32 v155, 0x100000, v155
	v_and_b32_e32 v25, 0x10000000, v25
	v_or3_b32 v25, v155, v25, v27
	v_lshrrev_b32_e32 v27, 8, v27
	v_and_b32_e32 v26, 31, v26
	v_and_b32_e32 v27, 31, v27
	v_cvt_f16_u16_e32 v26, v26
	v_cvt_f16_u16_e32 v27, v27
	v_pack_b32_f16 v26, v26, v27
	v_and_b32_sdwa v27, v25, v152 dst_sel:DWORD dst_unused:UNUSED_PAD src0_sel:WORD_1 src1_sel:DWORD
	v_cvt_f16_u16_sdwa v25, v25 dst_sel:DWORD dst_unused:UNUSED_PAD src0_sel:BYTE_3
	v_cvt_f16_u16_e32 v27, v27
	v_mul_u32_u24_sdwa v155, v24, s51 dst_sel:DWORD dst_unused:UNUSED_PAD src0_sel:WORD_0 src1_sel:DWORD
	v_mul_u32_u24_sdwa v24, v24, s51 dst_sel:DWORD dst_unused:UNUSED_PAD src0_sel:WORD_1 src1_sel:DWORD
	v_pack_b32_f16 v25, v27, v25
	v_pk_fma_f16 v26, v26, v155, v24
	v_pk_fma_f16 v24, v25, v155, v24
	;; [unrolled: 1-line block ×4, first 2 shown]
	v_lshl_add_u64 v[24:25], v[20:21], 0, v[64:65]
	global_load_dword v24, v[24:25], off offset:8
	s_nop 0
	global_load_dwordx2 v[20:21], v[20:21], off
	s_waitcnt vmcnt(1)
	v_ashrrev_i32_e32 v24, v146, v24
	v_and_b32_e32 v24, 0xf0f0f0f, v24
	s_waitcnt vmcnt(0)
	v_lshrrev_b32_e32 v25, v145, v21
	v_lshlrev_b32_e32 v25, 4, v25
	v_and_or_b32 v24, v25, 16, v24
	v_lshrrev_b32_e32 v25, v147, v21
	v_lshrrev_b32_e32 v26, v148, v21
	;; [unrolled: 1-line block ×3, first 2 shown]
	v_lshlrev_b32_e32 v25, 12, v25
	v_lshlrev_b32_e32 v26, 20, v26
	;; [unrolled: 1-line block ×3, first 2 shown]
	v_and_or_b32 v25, v25, s44, v24
	v_and_b32_e32 v26, 0x100000, v26
	v_and_b32_e32 v21, 0x10000000, v21
	v_or3_b32 v21, v26, v21, v25
	v_lshrrev_b32_e32 v25, 8, v25
	v_and_b32_e32 v24, 31, v24
	v_and_b32_e32 v25, 31, v25
	v_cvt_f16_u16_e32 v24, v24
	v_cvt_f16_u16_e32 v25, v25
	v_pack_b32_f16 v24, v24, v25
	v_and_b32_sdwa v25, v21, v152 dst_sel:DWORD dst_unused:UNUSED_PAD src0_sel:WORD_1 src1_sel:DWORD
	v_cvt_f16_u16_sdwa v21, v21 dst_sel:DWORD dst_unused:UNUSED_PAD src0_sel:BYTE_3
	v_cvt_f16_u16_e32 v25, v25
	v_mul_u32_u24_sdwa v26, v20, s51 dst_sel:DWORD dst_unused:UNUSED_PAD src0_sel:WORD_0 src1_sel:DWORD
	v_mul_u32_u24_sdwa v20, v20, s51 dst_sel:DWORD dst_unused:UNUSED_PAD src0_sel:WORD_1 src1_sel:DWORD
	v_pack_b32_f16 v21, v25, v21
	v_pk_fma_f16 v24, v24, v26, v20
	v_pk_fma_f16 v20, v21, v26, v20
	;; [unrolled: 1-line block ×4, first 2 shown]
	v_lshl_add_u64 v[20:21], s[20:21], 0, v[108:109]
	v_mad_u64_u32 v[24:25], s[12:13], v130, 24, v[20:21]
	v_lshl_add_u64 v[26:27], v[24:25], 0, v[62:63]
	global_load_dword v26, v[26:27], off offset:8
	v_mul_u32_u24_sdwa v31, v23, s51 dst_sel:DWORD dst_unused:UNUSED_PAD src0_sel:WORD_0 src1_sel:DWORD
	global_load_dwordx2 v[24:25], v[24:25], off
	v_mad_u64_u32 v[20:21], s[12:13], v128, 24, v[20:21]
	s_waitcnt vmcnt(1)
	v_ashrrev_i32_e32 v26, v146, v26
	v_and_b32_e32 v26, 0xf0f0f0f, v26
	s_waitcnt vmcnt(0)
	v_lshrrev_b32_e32 v27, v145, v25
	v_lshlrev_b32_e32 v27, 4, v27
	v_and_or_b32 v26, v27, 16, v26
	v_lshrrev_b32_e32 v27, v147, v25
	v_lshrrev_b32_e32 v155, v148, v25
	;; [unrolled: 1-line block ×3, first 2 shown]
	v_lshlrev_b32_e32 v27, 12, v27
	v_lshlrev_b32_e32 v155, 20, v155
	v_lshlrev_b32_e32 v25, 28, v25
	v_and_or_b32 v27, v27, s44, v26
	v_and_b32_e32 v155, 0x100000, v155
	v_and_b32_e32 v25, 0x10000000, v25
	v_or3_b32 v25, v155, v25, v27
	v_lshrrev_b32_e32 v27, 8, v27
	v_and_b32_e32 v26, 31, v26
	v_and_b32_e32 v27, 31, v27
	v_cvt_f16_u16_e32 v26, v26
	v_cvt_f16_u16_e32 v27, v27
	v_pack_b32_f16 v26, v26, v27
	v_and_b32_sdwa v27, v25, v152 dst_sel:DWORD dst_unused:UNUSED_PAD src0_sel:WORD_1 src1_sel:DWORD
	v_cvt_f16_u16_sdwa v25, v25 dst_sel:DWORD dst_unused:UNUSED_PAD src0_sel:BYTE_3
	v_cvt_f16_u16_e32 v27, v27
	v_mul_u32_u24_sdwa v155, v24, s51 dst_sel:DWORD dst_unused:UNUSED_PAD src0_sel:WORD_0 src1_sel:DWORD
	v_mul_u32_u24_sdwa v24, v24, s51 dst_sel:DWORD dst_unused:UNUSED_PAD src0_sel:WORD_1 src1_sel:DWORD
	v_pack_b32_f16 v25, v27, v25
	v_pk_fma_f16 v26, v26, v155, v24
	v_pk_fma_f16 v24, v25, v155, v24
	v_pk_fma_f16 v26, v26, v31, v28
	v_pk_fma_f16 v27, v24, v31, v29
	v_lshl_add_u64 v[24:25], v[20:21], 0, v[64:65]
	global_load_dword v24, v[24:25], off offset:8
	s_nop 0
	global_load_dwordx2 v[20:21], v[20:21], off
	s_waitcnt vmcnt(1)
	v_ashrrev_i32_e32 v24, v146, v24
	v_and_b32_e32 v24, 0xf0f0f0f, v24
	s_waitcnt vmcnt(0)
	v_lshrrev_b32_e32 v25, v145, v21
	v_lshlrev_b32_e32 v25, 4, v25
	v_and_or_b32 v24, v25, 16, v24
	v_lshrrev_b32_e32 v25, v147, v21
	v_lshrrev_b32_e32 v28, v148, v21
	;; [unrolled: 1-line block ×3, first 2 shown]
	v_lshlrev_b32_e32 v25, 12, v25
	v_lshlrev_b32_e32 v28, 20, v28
	;; [unrolled: 1-line block ×3, first 2 shown]
	v_and_or_b32 v25, v25, s44, v24
	v_and_b32_e32 v28, 0x100000, v28
	v_and_b32_e32 v21, 0x10000000, v21
	v_or3_b32 v21, v28, v21, v25
	v_lshrrev_b32_e32 v25, 8, v25
	v_and_b32_e32 v24, 31, v24
	v_and_b32_e32 v25, 31, v25
	v_cvt_f16_u16_e32 v24, v24
	v_cvt_f16_u16_e32 v25, v25
	v_pack_b32_f16 v24, v24, v25
	v_and_b32_sdwa v25, v21, v152 dst_sel:DWORD dst_unused:UNUSED_PAD src0_sel:WORD_1 src1_sel:DWORD
	v_cvt_f16_u16_sdwa v21, v21 dst_sel:DWORD dst_unused:UNUSED_PAD src0_sel:BYTE_3
	v_cvt_f16_u16_e32 v25, v25
	v_mul_u32_u24_sdwa v28, v20, s51 dst_sel:DWORD dst_unused:UNUSED_PAD src0_sel:WORD_0 src1_sel:DWORD
	v_mul_u32_u24_sdwa v20, v20, s51 dst_sel:DWORD dst_unused:UNUSED_PAD src0_sel:WORD_1 src1_sel:DWORD
	v_pack_b32_f16 v21, v25, v21
	v_pk_fma_f16 v24, v24, v28, v20
	v_pk_fma_f16 v20, v21, v28, v20
	;; [unrolled: 1-line block ×4, first 2 shown]
	v_lshl_add_u64 v[20:21], s[20:21], 0, v[110:111]
	v_mul_u32_u24_sdwa v30, v23, s51 dst_sel:DWORD dst_unused:UNUSED_PAD src0_sel:WORD_1 src1_sel:DWORD
	v_mad_u64_u32 v[22:23], s[12:13], v130, 24, v[20:21]
	v_lshl_add_u64 v[24:25], v[22:23], 0, v[62:63]
	global_load_dword v24, v[24:25], off offset:8
	v_mad_u64_u32 v[20:21], s[12:13], v128, 24, v[20:21]
	global_load_dwordx2 v[22:23], v[22:23], off
	s_waitcnt vmcnt(1)
	v_ashrrev_i32_e32 v24, v146, v24
	v_and_b32_e32 v24, 0xf0f0f0f, v24
	s_waitcnt vmcnt(0)
	v_lshrrev_b32_e32 v25, v145, v23
	v_lshlrev_b32_e32 v25, 4, v25
	v_and_or_b32 v24, v25, 16, v24
	v_lshrrev_b32_e32 v25, v147, v23
	v_lshrrev_b32_e32 v31, v148, v23
	;; [unrolled: 1-line block ×3, first 2 shown]
	v_lshlrev_b32_e32 v25, 12, v25
	v_lshlrev_b32_e32 v31, 20, v31
	;; [unrolled: 1-line block ×3, first 2 shown]
	v_and_or_b32 v25, v25, s44, v24
	v_and_b32_e32 v31, 0x100000, v31
	v_and_b32_e32 v23, 0x10000000, v23
	v_or3_b32 v23, v31, v23, v25
	v_lshrrev_b32_e32 v25, 8, v25
	v_and_b32_e32 v24, 31, v24
	v_and_b32_e32 v25, 31, v25
	v_cvt_f16_u16_e32 v24, v24
	v_cvt_f16_u16_e32 v25, v25
	v_pack_b32_f16 v24, v24, v25
	v_and_b32_sdwa v25, v23, v152 dst_sel:DWORD dst_unused:UNUSED_PAD src0_sel:WORD_1 src1_sel:DWORD
	v_cvt_f16_u16_sdwa v23, v23 dst_sel:DWORD dst_unused:UNUSED_PAD src0_sel:BYTE_3
	v_cvt_f16_u16_e32 v25, v25
	v_mul_u32_u24_sdwa v31, v22, s51 dst_sel:DWORD dst_unused:UNUSED_PAD src0_sel:WORD_0 src1_sel:DWORD
	v_mul_u32_u24_sdwa v22, v22, s51 dst_sel:DWORD dst_unused:UNUSED_PAD src0_sel:WORD_1 src1_sel:DWORD
	v_pack_b32_f16 v23, v25, v23
	v_pk_fma_f16 v24, v24, v31, v22
	v_pk_fma_f16 v22, v23, v31, v22
	;; [unrolled: 1-line block ×4, first 2 shown]
	v_lshl_add_u64 v[22:23], v[20:21], 0, v[64:65]
	global_load_dword v22, v[22:23], off offset:8
	s_nop 0
	global_load_dwordx2 v[20:21], v[20:21], off
	s_waitcnt vmcnt(1)
	v_ashrrev_i32_e32 v22, v146, v22
	v_and_b32_e32 v22, 0xf0f0f0f, v22
	s_waitcnt vmcnt(0)
	v_lshrrev_b32_e32 v23, v145, v21
	v_lshlrev_b32_e32 v23, 4, v23
	v_and_or_b32 v22, v23, 16, v22
	v_lshrrev_b32_e32 v23, v147, v21
	v_lshrrev_b32_e32 v24, v148, v21
	;; [unrolled: 1-line block ×3, first 2 shown]
	v_lshlrev_b32_e32 v23, 12, v23
	v_lshlrev_b32_e32 v24, 20, v24
	;; [unrolled: 1-line block ×3, first 2 shown]
	v_and_or_b32 v23, v23, s44, v22
	v_and_b32_e32 v24, 0x100000, v24
	v_and_b32_e32 v21, 0x10000000, v21
	v_or3_b32 v21, v24, v21, v23
	v_lshrrev_b32_e32 v23, 8, v23
	v_and_b32_e32 v22, 31, v22
	v_and_b32_e32 v23, 31, v23
	v_cvt_f16_u16_e32 v22, v22
	v_cvt_f16_u16_e32 v23, v23
	v_pack_b32_f16 v22, v22, v23
	v_and_b32_sdwa v23, v21, v152 dst_sel:DWORD dst_unused:UNUSED_PAD src0_sel:WORD_1 src1_sel:DWORD
	v_cvt_f16_u16_sdwa v21, v21 dst_sel:DWORD dst_unused:UNUSED_PAD src0_sel:BYTE_3
	v_cvt_f16_u16_e32 v23, v23
	v_mul_u32_u24_sdwa v24, v20, s51 dst_sel:DWORD dst_unused:UNUSED_PAD src0_sel:WORD_0 src1_sel:DWORD
	v_mul_u32_u24_sdwa v20, v20, s51 dst_sel:DWORD dst_unused:UNUSED_PAD src0_sel:WORD_1 src1_sel:DWORD
	v_pack_b32_f16 v21, v23, v21
	v_pk_fma_f16 v22, v22, v24, v20
	v_pk_fma_f16 v20, v21, v24, v20
	;; [unrolled: 1-line block ×4, first 2 shown]
	v_lshl_add_u64 v[20:21], s[20:21], 0, v[112:113]
	v_mad_u64_u32 v[22:23], s[12:13], v130, 24, v[20:21]
	v_lshl_add_u64 v[24:25], v[22:23], 0, v[62:63]
	global_load_dword v24, v[24:25], off offset:8
	s_waitcnt lgkmcnt(0)
	v_mul_u32_u24_sdwa v30, v16, s51 dst_sel:DWORD dst_unused:UNUSED_PAD src0_sel:WORD_0 src1_sel:DWORD
	global_load_dwordx2 v[22:23], v[22:23], off
	v_mad_u64_u32 v[20:21], s[12:13], v128, 24, v[20:21]
	v_mul_u32_u24_sdwa v16, v16, s51 dst_sel:DWORD dst_unused:UNUSED_PAD src0_sel:WORD_1 src1_sel:DWORD
	s_waitcnt vmcnt(1)
	v_ashrrev_i32_e32 v24, v146, v24
	v_and_b32_e32 v24, 0xf0f0f0f, v24
	s_waitcnt vmcnt(0)
	v_lshrrev_b32_e32 v25, v145, v23
	v_lshlrev_b32_e32 v25, 4, v25
	v_and_or_b32 v24, v25, 16, v24
	v_lshrrev_b32_e32 v25, v147, v23
	v_lshrrev_b32_e32 v31, v148, v23
	;; [unrolled: 1-line block ×3, first 2 shown]
	v_lshlrev_b32_e32 v25, 12, v25
	v_lshlrev_b32_e32 v31, 20, v31
	;; [unrolled: 1-line block ×3, first 2 shown]
	v_and_or_b32 v25, v25, s44, v24
	v_and_b32_e32 v31, 0x100000, v31
	v_and_b32_e32 v23, 0x10000000, v23
	v_or3_b32 v23, v31, v23, v25
	v_lshrrev_b32_e32 v25, 8, v25
	v_and_b32_e32 v24, 31, v24
	v_and_b32_e32 v25, 31, v25
	v_cvt_f16_u16_e32 v24, v24
	v_cvt_f16_u16_e32 v25, v25
	v_pack_b32_f16 v24, v24, v25
	v_and_b32_sdwa v25, v23, v152 dst_sel:DWORD dst_unused:UNUSED_PAD src0_sel:WORD_1 src1_sel:DWORD
	v_cvt_f16_u16_sdwa v23, v23 dst_sel:DWORD dst_unused:UNUSED_PAD src0_sel:BYTE_3
	v_cvt_f16_u16_e32 v25, v25
	v_mul_u32_u24_sdwa v31, v22, s51 dst_sel:DWORD dst_unused:UNUSED_PAD src0_sel:WORD_0 src1_sel:DWORD
	v_mul_u32_u24_sdwa v22, v22, s51 dst_sel:DWORD dst_unused:UNUSED_PAD src0_sel:WORD_1 src1_sel:DWORD
	v_pack_b32_f16 v23, v25, v23
	v_pk_fma_f16 v24, v24, v31, v22
	v_pk_fma_f16 v22, v23, v31, v22
	;; [unrolled: 1-line block ×4, first 2 shown]
	v_lshl_add_u64 v[22:23], v[20:21], 0, v[64:65]
	global_load_dword v22, v[22:23], off offset:8
	s_nop 0
	global_load_dwordx2 v[20:21], v[20:21], off
	s_waitcnt vmcnt(1)
	v_ashrrev_i32_e32 v22, v146, v22
	v_and_b32_e32 v22, 0xf0f0f0f, v22
	s_waitcnt vmcnt(0)
	v_lshrrev_b32_e32 v23, v145, v21
	v_lshlrev_b32_e32 v23, 4, v23
	v_and_or_b32 v22, v23, 16, v22
	v_lshrrev_b32_e32 v23, v147, v21
	v_lshrrev_b32_e32 v24, v148, v21
	;; [unrolled: 1-line block ×3, first 2 shown]
	v_lshlrev_b32_e32 v23, 12, v23
	v_lshlrev_b32_e32 v24, 20, v24
	v_lshlrev_b32_e32 v21, 28, v21
	v_and_or_b32 v23, v23, s44, v22
	v_and_b32_e32 v24, 0x100000, v24
	v_and_b32_e32 v21, 0x10000000, v21
	v_or3_b32 v21, v24, v21, v23
	v_lshrrev_b32_e32 v23, 8, v23
	v_and_b32_e32 v22, 31, v22
	v_and_b32_e32 v23, 31, v23
	v_cvt_f16_u16_e32 v22, v22
	v_cvt_f16_u16_e32 v23, v23
	v_pack_b32_f16 v22, v22, v23
	v_and_b32_sdwa v23, v21, v152 dst_sel:DWORD dst_unused:UNUSED_PAD src0_sel:WORD_1 src1_sel:DWORD
	v_cvt_f16_u16_sdwa v21, v21 dst_sel:DWORD dst_unused:UNUSED_PAD src0_sel:BYTE_3
	v_cvt_f16_u16_e32 v23, v23
	v_mul_u32_u24_sdwa v24, v20, s51 dst_sel:DWORD dst_unused:UNUSED_PAD src0_sel:WORD_0 src1_sel:DWORD
	v_mul_u32_u24_sdwa v20, v20, s51 dst_sel:DWORD dst_unused:UNUSED_PAD src0_sel:WORD_1 src1_sel:DWORD
	v_pack_b32_f16 v21, v23, v21
	v_pk_fma_f16 v22, v22, v24, v20
	v_pk_fma_f16 v20, v21, v24, v20
	;; [unrolled: 1-line block ×4, first 2 shown]
	v_lshl_add_u64 v[20:21], s[20:21], 0, v[114:115]
	v_mad_u64_u32 v[22:23], s[12:13], v130, 24, v[20:21]
	v_lshl_add_u64 v[24:25], v[22:23], 0, v[62:63]
	global_load_dword v24, v[24:25], off offset:8
	v_mad_u64_u32 v[20:21], s[12:13], v128, 24, v[20:21]
	global_load_dwordx2 v[22:23], v[22:23], off
	s_waitcnt vmcnt(1)
	v_ashrrev_i32_e32 v24, v146, v24
	v_and_b32_e32 v24, 0xf0f0f0f, v24
	s_waitcnt vmcnt(0)
	v_lshrrev_b32_e32 v25, v145, v23
	v_lshlrev_b32_e32 v25, 4, v25
	v_and_or_b32 v24, v25, 16, v24
	v_lshrrev_b32_e32 v25, v147, v23
	v_lshrrev_b32_e32 v30, v148, v23
	;; [unrolled: 1-line block ×3, first 2 shown]
	v_lshlrev_b32_e32 v25, 12, v25
	v_lshlrev_b32_e32 v30, 20, v30
	;; [unrolled: 1-line block ×3, first 2 shown]
	v_and_or_b32 v25, v25, s44, v24
	v_and_b32_e32 v30, 0x100000, v30
	v_and_b32_e32 v23, 0x10000000, v23
	v_or3_b32 v23, v30, v23, v25
	v_lshrrev_b32_e32 v25, 8, v25
	v_and_b32_e32 v24, 31, v24
	v_and_b32_e32 v25, 31, v25
	v_cvt_f16_u16_e32 v24, v24
	v_cvt_f16_u16_e32 v25, v25
	v_pack_b32_f16 v24, v24, v25
	v_and_b32_sdwa v25, v23, v152 dst_sel:DWORD dst_unused:UNUSED_PAD src0_sel:WORD_1 src1_sel:DWORD
	v_cvt_f16_u16_sdwa v23, v23 dst_sel:DWORD dst_unused:UNUSED_PAD src0_sel:BYTE_3
	v_cvt_f16_u16_e32 v25, v25
	v_mul_u32_u24_sdwa v30, v22, s51 dst_sel:DWORD dst_unused:UNUSED_PAD src0_sel:WORD_0 src1_sel:DWORD
	v_mul_u32_u24_sdwa v22, v22, s51 dst_sel:DWORD dst_unused:UNUSED_PAD src0_sel:WORD_1 src1_sel:DWORD
	v_pack_b32_f16 v23, v25, v23
	v_pk_fma_f16 v24, v24, v30, v22
	v_pk_fma_f16 v22, v23, v30, v22
	;; [unrolled: 1-line block ×4, first 2 shown]
	v_lshl_add_u64 v[22:23], v[20:21], 0, v[64:65]
	global_load_dword v22, v[22:23], off offset:8
	s_nop 0
	global_load_dwordx2 v[20:21], v[20:21], off
	s_waitcnt vmcnt(1)
	v_ashrrev_i32_e32 v22, v146, v22
	v_and_b32_e32 v22, 0xf0f0f0f, v22
	s_waitcnt vmcnt(0)
	v_lshrrev_b32_e32 v23, v145, v21
	v_lshlrev_b32_e32 v23, 4, v23
	v_and_or_b32 v22, v23, 16, v22
	v_lshrrev_b32_e32 v23, v147, v21
	v_lshrrev_b32_e32 v24, v148, v21
	;; [unrolled: 1-line block ×3, first 2 shown]
	v_lshlrev_b32_e32 v23, 12, v23
	v_lshlrev_b32_e32 v24, 20, v24
	;; [unrolled: 1-line block ×3, first 2 shown]
	v_and_or_b32 v23, v23, s44, v22
	v_and_b32_e32 v24, 0x100000, v24
	v_and_b32_e32 v21, 0x10000000, v21
	v_or3_b32 v21, v24, v21, v23
	v_lshrrev_b32_e32 v23, 8, v23
	v_and_b32_e32 v22, 31, v22
	v_and_b32_e32 v23, 31, v23
	v_cvt_f16_u16_e32 v22, v22
	v_cvt_f16_u16_e32 v23, v23
	v_pack_b32_f16 v22, v22, v23
	v_and_b32_sdwa v23, v21, v152 dst_sel:DWORD dst_unused:UNUSED_PAD src0_sel:WORD_1 src1_sel:DWORD
	v_cvt_f16_u16_sdwa v21, v21 dst_sel:DWORD dst_unused:UNUSED_PAD src0_sel:BYTE_3
	v_cvt_f16_u16_e32 v23, v23
	v_mul_u32_u24_sdwa v24, v20, s51 dst_sel:DWORD dst_unused:UNUSED_PAD src0_sel:WORD_0 src1_sel:DWORD
	v_mul_u32_u24_sdwa v20, v20, s51 dst_sel:DWORD dst_unused:UNUSED_PAD src0_sel:WORD_1 src1_sel:DWORD
	v_pack_b32_f16 v21, v23, v21
	v_pk_fma_f16 v22, v22, v24, v20
	v_pk_fma_f16 v20, v21, v24, v20
	;; [unrolled: 1-line block ×4, first 2 shown]
	v_lshl_add_u64 v[20:21], s[20:21], 0, v[116:117]
	v_mad_u64_u32 v[22:23], s[12:13], v130, 24, v[20:21]
	v_lshl_add_u64 v[24:25], v[22:23], 0, v[62:63]
	global_load_dword v24, v[24:25], off offset:8
	v_mul_u32_u24_sdwa v29, v17, s51 dst_sel:DWORD dst_unused:UNUSED_PAD src0_sel:WORD_0 src1_sel:DWORD
	global_load_dwordx2 v[22:23], v[22:23], off
	v_mad_u64_u32 v[20:21], s[12:13], v128, 24, v[20:21]
	s_waitcnt vmcnt(1)
	v_ashrrev_i32_e32 v24, v146, v24
	v_and_b32_e32 v24, 0xf0f0f0f, v24
	s_waitcnt vmcnt(0)
	v_lshrrev_b32_e32 v25, v145, v23
	v_lshlrev_b32_e32 v25, 4, v25
	v_and_or_b32 v24, v25, 16, v24
	v_lshrrev_b32_e32 v25, v147, v23
	v_lshrrev_b32_e32 v30, v148, v23
	;; [unrolled: 1-line block ×3, first 2 shown]
	v_lshlrev_b32_e32 v25, 12, v25
	v_lshlrev_b32_e32 v30, 20, v30
	;; [unrolled: 1-line block ×3, first 2 shown]
	v_and_or_b32 v25, v25, s44, v24
	v_and_b32_e32 v30, 0x100000, v30
	v_and_b32_e32 v23, 0x10000000, v23
	v_or3_b32 v23, v30, v23, v25
	v_lshrrev_b32_e32 v25, 8, v25
	v_and_b32_e32 v24, 31, v24
	v_and_b32_e32 v25, 31, v25
	v_cvt_f16_u16_e32 v24, v24
	v_cvt_f16_u16_e32 v25, v25
	v_pack_b32_f16 v24, v24, v25
	v_and_b32_sdwa v25, v23, v152 dst_sel:DWORD dst_unused:UNUSED_PAD src0_sel:WORD_1 src1_sel:DWORD
	v_cvt_f16_u16_sdwa v23, v23 dst_sel:DWORD dst_unused:UNUSED_PAD src0_sel:BYTE_3
	v_cvt_f16_u16_e32 v25, v25
	v_mul_u32_u24_sdwa v30, v22, s51 dst_sel:DWORD dst_unused:UNUSED_PAD src0_sel:WORD_0 src1_sel:DWORD
	v_mul_u32_u24_sdwa v22, v22, s51 dst_sel:DWORD dst_unused:UNUSED_PAD src0_sel:WORD_1 src1_sel:DWORD
	v_pack_b32_f16 v23, v25, v23
	v_pk_fma_f16 v24, v24, v30, v22
	v_pk_fma_f16 v22, v23, v30, v22
	;; [unrolled: 1-line block ×4, first 2 shown]
	v_lshl_add_u64 v[22:23], v[20:21], 0, v[64:65]
	global_load_dword v22, v[22:23], off offset:8
	s_nop 0
	global_load_dwordx2 v[20:21], v[20:21], off
	s_waitcnt vmcnt(1)
	v_ashrrev_i32_e32 v22, v146, v22
	v_and_b32_e32 v22, 0xf0f0f0f, v22
	s_waitcnt vmcnt(0)
	v_lshrrev_b32_e32 v23, v145, v21
	v_lshlrev_b32_e32 v23, 4, v23
	v_and_or_b32 v22, v23, 16, v22
	v_lshrrev_b32_e32 v23, v147, v21
	v_lshrrev_b32_e32 v26, v148, v21
	;; [unrolled: 1-line block ×3, first 2 shown]
	v_lshlrev_b32_e32 v23, 12, v23
	v_lshlrev_b32_e32 v26, 20, v26
	v_lshlrev_b32_e32 v21, 28, v21
	v_and_or_b32 v23, v23, s44, v22
	v_and_b32_e32 v26, 0x100000, v26
	v_and_b32_e32 v21, 0x10000000, v21
	v_or3_b32 v21, v26, v21, v23
	v_lshrrev_b32_e32 v23, 8, v23
	v_and_b32_e32 v22, 31, v22
	v_and_b32_e32 v23, 31, v23
	v_cvt_f16_u16_e32 v22, v22
	v_cvt_f16_u16_e32 v23, v23
	v_pack_b32_f16 v22, v22, v23
	v_and_b32_sdwa v23, v21, v152 dst_sel:DWORD dst_unused:UNUSED_PAD src0_sel:WORD_1 src1_sel:DWORD
	v_cvt_f16_u16_sdwa v21, v21 dst_sel:DWORD dst_unused:UNUSED_PAD src0_sel:BYTE_3
	v_cvt_f16_u16_e32 v23, v23
	v_mul_u32_u24_sdwa v26, v20, s51 dst_sel:DWORD dst_unused:UNUSED_PAD src0_sel:WORD_0 src1_sel:DWORD
	v_mul_u32_u24_sdwa v20, v20, s51 dst_sel:DWORD dst_unused:UNUSED_PAD src0_sel:WORD_1 src1_sel:DWORD
	v_pack_b32_f16 v21, v23, v21
	v_pk_fma_f16 v22, v22, v26, v20
	v_pk_fma_f16 v20, v21, v26, v20
	;; [unrolled: 1-line block ×4, first 2 shown]
	v_mul_u32_u24_sdwa v28, v17, s51 dst_sel:DWORD dst_unused:UNUSED_PAD src0_sel:WORD_1 src1_sel:DWORD
	v_lshl_add_u64 v[16:17], s[20:21], 0, v[118:119]
	v_mad_u64_u32 v[20:21], s[12:13], v130, 24, v[16:17]
	v_lshl_add_u64 v[22:23], v[20:21], 0, v[62:63]
	global_load_dword v22, v[22:23], off offset:8
	v_mad_u64_u32 v[16:17], s[12:13], v128, 24, v[16:17]
	global_load_dwordx2 v[20:21], v[20:21], off
	s_waitcnt vmcnt(1)
	v_ashrrev_i32_e32 v22, v146, v22
	v_and_b32_e32 v22, 0xf0f0f0f, v22
	s_waitcnt vmcnt(0)
	v_lshrrev_b32_e32 v23, v145, v21
	v_lshlrev_b32_e32 v23, 4, v23
	v_and_or_b32 v22, v23, 16, v22
	v_lshrrev_b32_e32 v23, v147, v21
	v_lshrrev_b32_e32 v29, v148, v21
	;; [unrolled: 1-line block ×3, first 2 shown]
	v_lshlrev_b32_e32 v23, 12, v23
	v_lshlrev_b32_e32 v29, 20, v29
	;; [unrolled: 1-line block ×3, first 2 shown]
	v_and_or_b32 v23, v23, s44, v22
	v_and_b32_e32 v29, 0x100000, v29
	v_and_b32_e32 v21, 0x10000000, v21
	v_or3_b32 v21, v29, v21, v23
	v_lshrrev_b32_e32 v23, 8, v23
	v_and_b32_e32 v22, 31, v22
	v_and_b32_e32 v23, 31, v23
	v_cvt_f16_u16_e32 v22, v22
	v_cvt_f16_u16_e32 v23, v23
	v_pack_b32_f16 v22, v22, v23
	v_and_b32_sdwa v23, v21, v152 dst_sel:DWORD dst_unused:UNUSED_PAD src0_sel:WORD_1 src1_sel:DWORD
	v_cvt_f16_u16_sdwa v21, v21 dst_sel:DWORD dst_unused:UNUSED_PAD src0_sel:BYTE_3
	v_cvt_f16_u16_e32 v23, v23
	v_mul_u32_u24_sdwa v29, v20, s51 dst_sel:DWORD dst_unused:UNUSED_PAD src0_sel:WORD_0 src1_sel:DWORD
	v_mul_u32_u24_sdwa v20, v20, s51 dst_sel:DWORD dst_unused:UNUSED_PAD src0_sel:WORD_1 src1_sel:DWORD
	v_pack_b32_f16 v21, v23, v21
	v_pk_fma_f16 v22, v22, v29, v20
	v_pk_fma_f16 v20, v21, v29, v20
	;; [unrolled: 1-line block ×4, first 2 shown]
	v_lshl_add_u64 v[20:21], v[16:17], 0, v[64:65]
	global_load_dword v20, v[20:21], off offset:8
	s_nop 0
	global_load_dwordx2 v[16:17], v[16:17], off
	s_waitcnt vmcnt(1)
	v_ashrrev_i32_e32 v20, v146, v20
	v_and_b32_e32 v20, 0xf0f0f0f, v20
	s_waitcnt vmcnt(0)
	v_lshrrev_b32_e32 v21, v145, v17
	v_lshlrev_b32_e32 v21, 4, v21
	v_and_or_b32 v20, v21, 16, v20
	v_lshrrev_b32_e32 v21, v147, v17
	v_lshrrev_b32_e32 v22, v148, v17
	;; [unrolled: 1-line block ×3, first 2 shown]
	v_lshlrev_b32_e32 v21, 12, v21
	v_lshlrev_b32_e32 v22, 20, v22
	;; [unrolled: 1-line block ×3, first 2 shown]
	v_and_or_b32 v21, v21, s44, v20
	v_and_b32_e32 v22, 0x100000, v22
	v_and_b32_e32 v17, 0x10000000, v17
	v_or3_b32 v17, v22, v17, v21
	v_lshrrev_b32_e32 v21, 8, v21
	v_and_b32_e32 v20, 31, v20
	v_and_b32_e32 v21, 31, v21
	v_cvt_f16_u16_e32 v20, v20
	v_cvt_f16_u16_e32 v21, v21
	v_pack_b32_f16 v20, v20, v21
	v_and_b32_sdwa v21, v17, v152 dst_sel:DWORD dst_unused:UNUSED_PAD src0_sel:WORD_1 src1_sel:DWORD
	v_cvt_f16_u16_sdwa v17, v17 dst_sel:DWORD dst_unused:UNUSED_PAD src0_sel:BYTE_3
	v_cvt_f16_u16_e32 v21, v21
	v_mul_u32_u24_sdwa v22, v16, s51 dst_sel:DWORD dst_unused:UNUSED_PAD src0_sel:WORD_0 src1_sel:DWORD
	v_mul_u32_u24_sdwa v16, v16, s51 dst_sel:DWORD dst_unused:UNUSED_PAD src0_sel:WORD_1 src1_sel:DWORD
	v_pack_b32_f16 v17, v21, v17
	v_pk_fma_f16 v20, v20, v22, v16
	v_pk_fma_f16 v16, v17, v22, v16
	;; [unrolled: 1-line block ×4, first 2 shown]
	v_lshl_add_u64 v[16:17], s[20:21], 0, v[120:121]
	v_mad_u64_u32 v[20:21], s[12:13], v130, 24, v[16:17]
	v_lshl_add_u64 v[22:23], v[20:21], 0, v[62:63]
	global_load_dword v22, v[22:23], off offset:8
	v_mul_u32_u24_sdwa v28, v18, s51 dst_sel:DWORD dst_unused:UNUSED_PAD src0_sel:WORD_0 src1_sel:DWORD
	global_load_dwordx2 v[20:21], v[20:21], off
	v_mad_u64_u32 v[16:17], s[12:13], v128, 24, v[16:17]
	v_mul_u32_u24_sdwa v18, v18, s51 dst_sel:DWORD dst_unused:UNUSED_PAD src0_sel:WORD_1 src1_sel:DWORD
	s_waitcnt vmcnt(1)
	v_ashrrev_i32_e32 v22, v146, v22
	v_and_b32_e32 v22, 0xf0f0f0f, v22
	s_waitcnt vmcnt(0)
	v_lshrrev_b32_e32 v23, v145, v21
	v_lshlrev_b32_e32 v23, 4, v23
	v_and_or_b32 v22, v23, 16, v22
	v_lshrrev_b32_e32 v23, v147, v21
	v_lshrrev_b32_e32 v29, v148, v21
	;; [unrolled: 1-line block ×3, first 2 shown]
	v_lshlrev_b32_e32 v23, 12, v23
	v_lshlrev_b32_e32 v29, 20, v29
	;; [unrolled: 1-line block ×3, first 2 shown]
	v_and_or_b32 v23, v23, s44, v22
	v_and_b32_e32 v29, 0x100000, v29
	v_and_b32_e32 v21, 0x10000000, v21
	v_or3_b32 v21, v29, v21, v23
	v_lshrrev_b32_e32 v23, 8, v23
	v_and_b32_e32 v22, 31, v22
	v_and_b32_e32 v23, 31, v23
	v_cvt_f16_u16_e32 v22, v22
	v_cvt_f16_u16_e32 v23, v23
	v_pack_b32_f16 v22, v22, v23
	v_and_b32_sdwa v23, v21, v152 dst_sel:DWORD dst_unused:UNUSED_PAD src0_sel:WORD_1 src1_sel:DWORD
	v_cvt_f16_u16_sdwa v21, v21 dst_sel:DWORD dst_unused:UNUSED_PAD src0_sel:BYTE_3
	v_cvt_f16_u16_e32 v23, v23
	v_mul_u32_u24_sdwa v29, v20, s51 dst_sel:DWORD dst_unused:UNUSED_PAD src0_sel:WORD_0 src1_sel:DWORD
	v_mul_u32_u24_sdwa v20, v20, s51 dst_sel:DWORD dst_unused:UNUSED_PAD src0_sel:WORD_1 src1_sel:DWORD
	v_pack_b32_f16 v21, v23, v21
	v_pk_fma_f16 v22, v22, v29, v20
	v_pk_fma_f16 v20, v21, v29, v20
	;; [unrolled: 1-line block ×4, first 2 shown]
	v_lshl_add_u64 v[20:21], v[16:17], 0, v[64:65]
	global_load_dword v20, v[20:21], off offset:8
	s_nop 0
	global_load_dwordx2 v[16:17], v[16:17], off
	s_waitcnt vmcnt(1)
	v_ashrrev_i32_e32 v20, v146, v20
	v_and_b32_e32 v20, 0xf0f0f0f, v20
	s_waitcnt vmcnt(0)
	v_lshrrev_b32_e32 v21, v145, v17
	v_lshlrev_b32_e32 v21, 4, v21
	v_and_or_b32 v20, v21, 16, v20
	v_lshrrev_b32_e32 v21, v147, v17
	v_lshrrev_b32_e32 v22, v148, v17
	;; [unrolled: 1-line block ×3, first 2 shown]
	v_lshlrev_b32_e32 v21, 12, v21
	v_lshlrev_b32_e32 v22, 20, v22
	;; [unrolled: 1-line block ×3, first 2 shown]
	v_and_or_b32 v21, v21, s44, v20
	v_and_b32_e32 v22, 0x100000, v22
	v_and_b32_e32 v17, 0x10000000, v17
	v_or3_b32 v17, v22, v17, v21
	v_lshrrev_b32_e32 v21, 8, v21
	v_and_b32_e32 v20, 31, v20
	v_and_b32_e32 v21, 31, v21
	v_cvt_f16_u16_e32 v20, v20
	v_cvt_f16_u16_e32 v21, v21
	v_pack_b32_f16 v20, v20, v21
	v_and_b32_sdwa v21, v17, v152 dst_sel:DWORD dst_unused:UNUSED_PAD src0_sel:WORD_1 src1_sel:DWORD
	v_cvt_f16_u16_sdwa v17, v17 dst_sel:DWORD dst_unused:UNUSED_PAD src0_sel:BYTE_3
	v_cvt_f16_u16_e32 v21, v21
	v_mul_u32_u24_sdwa v22, v16, s51 dst_sel:DWORD dst_unused:UNUSED_PAD src0_sel:WORD_0 src1_sel:DWORD
	v_mul_u32_u24_sdwa v16, v16, s51 dst_sel:DWORD dst_unused:UNUSED_PAD src0_sel:WORD_1 src1_sel:DWORD
	v_pack_b32_f16 v17, v21, v17
	v_pk_fma_f16 v20, v20, v22, v16
	v_pk_fma_f16 v16, v17, v22, v16
	;; [unrolled: 1-line block ×4, first 2 shown]
	v_lshl_add_u64 v[16:17], s[20:21], 0, v[122:123]
	v_mad_u64_u32 v[20:21], s[12:13], v130, 24, v[16:17]
	v_lshl_add_u64 v[22:23], v[20:21], 0, v[62:63]
	global_load_dword v22, v[22:23], off offset:8
	v_mad_u64_u32 v[16:17], s[12:13], v128, 24, v[16:17]
	global_load_dwordx2 v[20:21], v[20:21], off
	s_waitcnt vmcnt(1)
	v_ashrrev_i32_e32 v22, v146, v22
	v_and_b32_e32 v22, 0xf0f0f0f, v22
	s_waitcnt vmcnt(0)
	v_lshrrev_b32_e32 v23, v145, v21
	v_lshlrev_b32_e32 v23, 4, v23
	v_and_or_b32 v22, v23, 16, v22
	v_lshrrev_b32_e32 v23, v147, v21
	v_lshrrev_b32_e32 v28, v148, v21
	;; [unrolled: 1-line block ×3, first 2 shown]
	v_lshlrev_b32_e32 v23, 12, v23
	v_lshlrev_b32_e32 v28, 20, v28
	;; [unrolled: 1-line block ×3, first 2 shown]
	v_and_or_b32 v23, v23, s44, v22
	v_and_b32_e32 v28, 0x100000, v28
	v_and_b32_e32 v21, 0x10000000, v21
	v_or3_b32 v21, v28, v21, v23
	v_lshrrev_b32_e32 v23, 8, v23
	v_and_b32_e32 v22, 31, v22
	v_and_b32_e32 v23, 31, v23
	v_cvt_f16_u16_e32 v22, v22
	v_cvt_f16_u16_e32 v23, v23
	v_pack_b32_f16 v22, v22, v23
	v_and_b32_sdwa v23, v21, v152 dst_sel:DWORD dst_unused:UNUSED_PAD src0_sel:WORD_1 src1_sel:DWORD
	v_cvt_f16_u16_sdwa v21, v21 dst_sel:DWORD dst_unused:UNUSED_PAD src0_sel:BYTE_3
	v_cvt_f16_u16_e32 v23, v23
	v_mul_u32_u24_sdwa v28, v20, s51 dst_sel:DWORD dst_unused:UNUSED_PAD src0_sel:WORD_0 src1_sel:DWORD
	v_mul_u32_u24_sdwa v20, v20, s51 dst_sel:DWORD dst_unused:UNUSED_PAD src0_sel:WORD_1 src1_sel:DWORD
	v_pack_b32_f16 v21, v23, v21
	v_pk_fma_f16 v22, v22, v28, v20
	v_pk_fma_f16 v20, v21, v28, v20
	;; [unrolled: 1-line block ×4, first 2 shown]
	v_lshl_add_u64 v[20:21], v[16:17], 0, v[64:65]
	global_load_dword v20, v[20:21], off offset:8
	s_nop 0
	global_load_dwordx2 v[16:17], v[16:17], off
	s_waitcnt vmcnt(1)
	v_ashrrev_i32_e32 v20, v146, v20
	v_and_b32_e32 v20, 0xf0f0f0f, v20
	s_waitcnt vmcnt(0)
	v_lshrrev_b32_e32 v21, v145, v17
	v_lshlrev_b32_e32 v21, 4, v21
	v_and_or_b32 v20, v21, 16, v20
	v_lshrrev_b32_e32 v21, v147, v17
	v_lshrrev_b32_e32 v22, v148, v17
	;; [unrolled: 1-line block ×3, first 2 shown]
	v_lshlrev_b32_e32 v21, 12, v21
	v_lshlrev_b32_e32 v22, 20, v22
	;; [unrolled: 1-line block ×3, first 2 shown]
	v_and_or_b32 v21, v21, s44, v20
	v_and_b32_e32 v22, 0x100000, v22
	v_and_b32_e32 v17, 0x10000000, v17
	v_or3_b32 v17, v22, v17, v21
	v_lshrrev_b32_e32 v21, 8, v21
	v_and_b32_e32 v20, 31, v20
	v_and_b32_e32 v21, 31, v21
	v_cvt_f16_u16_e32 v20, v20
	v_cvt_f16_u16_e32 v21, v21
	v_pack_b32_f16 v20, v20, v21
	v_and_b32_sdwa v21, v17, v152 dst_sel:DWORD dst_unused:UNUSED_PAD src0_sel:WORD_1 src1_sel:DWORD
	v_cvt_f16_u16_sdwa v17, v17 dst_sel:DWORD dst_unused:UNUSED_PAD src0_sel:BYTE_3
	v_cvt_f16_u16_e32 v21, v21
	v_mul_u32_u24_sdwa v22, v16, s51 dst_sel:DWORD dst_unused:UNUSED_PAD src0_sel:WORD_0 src1_sel:DWORD
	v_mul_u32_u24_sdwa v16, v16, s51 dst_sel:DWORD dst_unused:UNUSED_PAD src0_sel:WORD_1 src1_sel:DWORD
	v_pack_b32_f16 v17, v21, v17
	v_pk_fma_f16 v20, v20, v22, v16
	v_pk_fma_f16 v16, v17, v22, v16
	;; [unrolled: 1-line block ×4, first 2 shown]
	v_lshl_add_u64 v[16:17], s[20:21], 0, v[124:125]
	v_mad_u64_u32 v[20:21], s[12:13], v130, 24, v[16:17]
	v_lshl_add_u64 v[22:23], v[20:21], 0, v[62:63]
	global_load_dword v22, v[22:23], off offset:8
	v_mul_u32_u24_sdwa v27, v19, s51 dst_sel:DWORD dst_unused:UNUSED_PAD src0_sel:WORD_0 src1_sel:DWORD
	global_load_dwordx2 v[20:21], v[20:21], off
	v_mad_u64_u32 v[16:17], s[12:13], v128, 24, v[16:17]
	s_waitcnt vmcnt(1)
	v_ashrrev_i32_e32 v22, v146, v22
	v_and_b32_e32 v22, 0xf0f0f0f, v22
	s_waitcnt vmcnt(0)
	v_lshrrev_b32_e32 v23, v145, v21
	v_lshlrev_b32_e32 v23, 4, v23
	v_and_or_b32 v22, v23, 16, v22
	v_lshrrev_b32_e32 v23, v147, v21
	v_lshrrev_b32_e32 v28, v148, v21
	v_lshrrev_b32_e32 v21, v149, v21
	v_lshlrev_b32_e32 v23, 12, v23
	v_lshlrev_b32_e32 v28, 20, v28
	;; [unrolled: 1-line block ×3, first 2 shown]
	v_and_or_b32 v23, v23, s44, v22
	v_and_b32_e32 v28, 0x100000, v28
	v_and_b32_e32 v21, 0x10000000, v21
	v_or3_b32 v21, v28, v21, v23
	v_lshrrev_b32_e32 v23, 8, v23
	v_and_b32_e32 v22, 31, v22
	v_and_b32_e32 v23, 31, v23
	v_cvt_f16_u16_e32 v22, v22
	v_cvt_f16_u16_e32 v23, v23
	v_pack_b32_f16 v22, v22, v23
	v_and_b32_sdwa v23, v21, v152 dst_sel:DWORD dst_unused:UNUSED_PAD src0_sel:WORD_1 src1_sel:DWORD
	v_cvt_f16_u16_sdwa v21, v21 dst_sel:DWORD dst_unused:UNUSED_PAD src0_sel:BYTE_3
	v_cvt_f16_u16_e32 v23, v23
	v_mul_u32_u24_sdwa v28, v20, s51 dst_sel:DWORD dst_unused:UNUSED_PAD src0_sel:WORD_0 src1_sel:DWORD
	v_mul_u32_u24_sdwa v20, v20, s51 dst_sel:DWORD dst_unused:UNUSED_PAD src0_sel:WORD_1 src1_sel:DWORD
	v_pack_b32_f16 v21, v23, v21
	v_pk_fma_f16 v22, v22, v28, v20
	v_pk_fma_f16 v20, v21, v28, v20
	;; [unrolled: 1-line block ×4, first 2 shown]
	v_lshl_add_u64 v[20:21], v[16:17], 0, v[64:65]
	global_load_dword v20, v[20:21], off offset:8
	s_nop 0
	global_load_dwordx2 v[16:17], v[16:17], off
	s_waitcnt vmcnt(1)
	v_ashrrev_i32_e32 v20, v146, v20
	v_and_b32_e32 v20, 0xf0f0f0f, v20
	s_waitcnt vmcnt(0)
	v_lshrrev_b32_e32 v21, v145, v17
	v_lshlrev_b32_e32 v21, 4, v21
	v_and_or_b32 v20, v21, 16, v20
	v_lshrrev_b32_e32 v21, v147, v17
	v_lshrrev_b32_e32 v24, v148, v17
	;; [unrolled: 1-line block ×3, first 2 shown]
	v_lshlrev_b32_e32 v21, 12, v21
	v_lshlrev_b32_e32 v24, 20, v24
	;; [unrolled: 1-line block ×3, first 2 shown]
	v_and_or_b32 v21, v21, s44, v20
	v_and_b32_e32 v24, 0x100000, v24
	v_and_b32_e32 v17, 0x10000000, v17
	v_or3_b32 v17, v24, v17, v21
	v_lshrrev_b32_e32 v21, 8, v21
	v_and_b32_e32 v20, 31, v20
	v_and_b32_e32 v21, 31, v21
	v_cvt_f16_u16_e32 v20, v20
	v_cvt_f16_u16_e32 v21, v21
	v_pack_b32_f16 v20, v20, v21
	v_and_b32_sdwa v21, v17, v152 dst_sel:DWORD dst_unused:UNUSED_PAD src0_sel:WORD_1 src1_sel:DWORD
	v_cvt_f16_u16_sdwa v17, v17 dst_sel:DWORD dst_unused:UNUSED_PAD src0_sel:BYTE_3
	v_cvt_f16_u16_e32 v21, v21
	v_mul_u32_u24_sdwa v24, v16, s51 dst_sel:DWORD dst_unused:UNUSED_PAD src0_sel:WORD_0 src1_sel:DWORD
	v_mul_u32_u24_sdwa v16, v16, s51 dst_sel:DWORD dst_unused:UNUSED_PAD src0_sel:WORD_1 src1_sel:DWORD
	v_pack_b32_f16 v17, v21, v17
	v_pk_fma_f16 v20, v20, v24, v16
	v_pk_fma_f16 v16, v17, v24, v16
	;; [unrolled: 1-line block ×4, first 2 shown]
	v_lshl_add_u64 v[16:17], s[20:21], 0, v[126:127]
	v_mul_u32_u24_sdwa v27, v19, s51 dst_sel:DWORD dst_unused:UNUSED_PAD src0_sel:WORD_1 src1_sel:DWORD
	v_mad_u64_u32 v[18:19], s[12:13], v130, 24, v[16:17]
	v_lshl_add_u64 v[20:21], v[18:19], 0, v[62:63]
	global_load_dword v20, v[20:21], off offset:8
	v_mad_u64_u32 v[16:17], s[12:13], v128, 24, v[16:17]
	global_load_dwordx2 v[18:19], v[18:19], off
	s_add_u32 s20, s20, s43
	s_addc_u32 s21, s21, 0
	s_lshl_b64 s[12:13], s[26:27], 1
	s_add_u32 s18, s18, s12
	s_addc_u32 s19, s19, s13
	s_cmp_ge_i32 s16, s42
	s_waitcnt vmcnt(1)
	v_ashrrev_i32_e32 v20, v146, v20
	v_and_b32_e32 v20, 0xf0f0f0f, v20
	s_waitcnt vmcnt(0)
	v_lshrrev_b32_e32 v21, v145, v19
	v_lshlrev_b32_e32 v21, 4, v21
	v_and_or_b32 v20, v21, 16, v20
	v_lshrrev_b32_e32 v21, v147, v19
	v_lshrrev_b32_e32 v25, v148, v19
	;; [unrolled: 1-line block ×3, first 2 shown]
	v_lshlrev_b32_e32 v21, 12, v21
	v_lshlrev_b32_e32 v25, 20, v25
	;; [unrolled: 1-line block ×3, first 2 shown]
	v_and_or_b32 v21, v21, s44, v20
	v_and_b32_e32 v25, 0x100000, v25
	v_and_b32_e32 v19, 0x10000000, v19
	v_or3_b32 v19, v25, v19, v21
	v_lshrrev_b32_e32 v21, 8, v21
	v_and_b32_e32 v20, 31, v20
	v_and_b32_e32 v21, 31, v21
	v_cvt_f16_u16_e32 v20, v20
	v_cvt_f16_u16_e32 v21, v21
	v_pack_b32_f16 v20, v20, v21
	v_and_b32_sdwa v21, v19, v152 dst_sel:DWORD dst_unused:UNUSED_PAD src0_sel:WORD_1 src1_sel:DWORD
	v_cvt_f16_u16_sdwa v19, v19 dst_sel:DWORD dst_unused:UNUSED_PAD src0_sel:BYTE_3
	v_cvt_f16_u16_e32 v21, v21
	v_mul_u32_u24_sdwa v25, v18, s51 dst_sel:DWORD dst_unused:UNUSED_PAD src0_sel:WORD_0 src1_sel:DWORD
	v_mul_u32_u24_sdwa v18, v18, s51 dst_sel:DWORD dst_unused:UNUSED_PAD src0_sel:WORD_1 src1_sel:DWORD
	v_pack_b32_f16 v19, v21, v19
	v_pk_fma_f16 v20, v20, v25, v18
	v_pk_fma_f16 v18, v19, v25, v18
	;; [unrolled: 1-line block ×4, first 2 shown]
	v_lshl_add_u64 v[18:19], v[16:17], 0, v[64:65]
	global_load_dword v18, v[18:19], off offset:8
	s_nop 0
	global_load_dwordx2 v[16:17], v[16:17], off
	s_waitcnt vmcnt(1)
	v_ashrrev_i32_e32 v18, v146, v18
	v_and_b32_e32 v18, 0xf0f0f0f, v18
	s_waitcnt vmcnt(0)
	v_lshrrev_b32_e32 v19, v145, v17
	v_lshlrev_b32_e32 v19, 4, v19
	v_and_or_b32 v18, v19, 16, v18
	v_lshrrev_b32_e32 v19, v147, v17
	v_lshrrev_b32_e32 v20, v148, v17
	;; [unrolled: 1-line block ×3, first 2 shown]
	v_lshlrev_b32_e32 v19, 12, v19
	v_lshlrev_b32_e32 v20, 20, v20
	v_lshlrev_b32_e32 v17, 28, v17
	v_and_or_b32 v19, v19, s44, v18
	v_and_b32_e32 v20, 0x100000, v20
	v_and_b32_e32 v17, 0x10000000, v17
	v_or3_b32 v17, v20, v17, v19
	v_lshrrev_b32_e32 v19, 8, v19
	v_and_b32_e32 v18, 31, v18
	v_and_b32_e32 v19, 31, v19
	v_cvt_f16_u16_e32 v18, v18
	v_cvt_f16_u16_e32 v19, v19
	v_pack_b32_f16 v18, v18, v19
	v_and_b32_sdwa v19, v17, v152 dst_sel:DWORD dst_unused:UNUSED_PAD src0_sel:WORD_1 src1_sel:DWORD
	v_cvt_f16_u16_sdwa v17, v17 dst_sel:DWORD dst_unused:UNUSED_PAD src0_sel:BYTE_3
	v_cvt_f16_u16_e32 v19, v19
	v_mul_u32_u24_sdwa v20, v16, s51 dst_sel:DWORD dst_unused:UNUSED_PAD src0_sel:WORD_0 src1_sel:DWORD
	v_mul_u32_u24_sdwa v16, v16, s51 dst_sel:DWORD dst_unused:UNUSED_PAD src0_sel:WORD_1 src1_sel:DWORD
	v_pack_b32_f16 v17, v19, v17
	v_pk_fma_f16 v18, v18, v20, v16
	v_pk_fma_f16 v16, v17, v20, v16
	;; [unrolled: 1-line block ×4, first 2 shown]
	s_cbranch_scc1 .LBB27_42
; %bb.40:                               ;   in Loop: Header=BB27_15 Depth=1
	v_mov_b32_e32 v26, v154
	s_branch .LBB27_15
.LBB27_41:
	v_mov_b32_e32 v22, 0
	v_mov_b32_e32 v154, 0xfeffffff
	;; [unrolled: 1-line block ×5, first 2 shown]
.LBB27_42:
	s_cmp_lg_u64 s[24:25], 0
	v_or_b32_e32 v0, s3, v129
	s_cselect_b64 s[4:5], -1, 0
	v_cmp_eq_u32_e32 vcc, 0, v0
	s_and_b64 s[6:7], vcc, s[4:5]
	s_and_saveexec_b64 s[4:5], s[6:7]
	s_cbranch_execz .LBB27_44
; %bb.43:
	s_lshl_b64 s[6:7], s[40:41], 2
	s_add_u32 s6, s24, s6
	s_addc_u32 s7, s25, s7
	s_load_dword s6, s[6:7], 0x0
	v_max_f32_e32 v0, v154, v154
	s_mov_b32 s7, 0x3fb8aa3b
	s_mov_b32 s8, 0x42b17218
	s_waitcnt lgkmcnt(0)
	v_max_f32_e64 v1, s6, s6
	v_max_f32_e32 v0, v0, v1
	v_sub_f32_e32 v1, s6, v0
	v_mul_f32_e32 v2, 0x3fb8aa3b, v1
	v_fma_f32 v3, v1, s7, -v2
	v_rndne_f32_e32 v4, v2
	v_fmac_f32_e32 v3, 0x32a5705f, v1
	v_sub_f32_e32 v2, v2, v4
	v_add_f32_e32 v2, v2, v3
	v_cvt_i32_f32_e32 v3, v4
	v_exp_f32_e32 v2, v2
	s_mov_b32 s6, 0xc2ce8ed0
	v_cmp_ngt_f32_e32 vcc, s6, v1
	v_ldexp_f32 v2, v2, v3
	v_sub_f32_e32 v3, v154, v0
	v_mul_f32_e32 v4, 0x3fb8aa3b, v3
	v_fma_f32 v5, v3, s7, -v4
	v_rndne_f32_e32 v6, v4
	v_fmac_f32_e32 v5, 0x32a5705f, v3
	v_sub_f32_e32 v4, v4, v6
	v_add_f32_e32 v4, v4, v5
	v_exp_f32_e32 v4, v4
	v_cvt_i32_f32_e32 v5, v6
	v_cndmask_b32_e32 v2, 0, v2, vcc
	v_mov_b32_e32 v6, 0x7f800000
	v_cmp_nlt_f32_e32 vcc, s8, v1
	v_mov_b32_e32 v154, v0
	s_nop 0
	v_cndmask_b32_e32 v1, v6, v2, vcc
	v_ldexp_f32 v2, v4, v5
	v_cmp_ngt_f32_e32 vcc, s6, v3
	s_nop 1
	v_cndmask_b32_e32 v2, 0, v2, vcc
	v_cmp_nlt_f32_e32 vcc, s8, v3
	s_nop 1
	v_cndmask_b32_e32 v2, v6, v2, vcc
	v_cvt_f16_f32_e32 v3, v2
	v_cmp_eq_u32_e32 vcc, 0, v131
	s_nop 1
	v_cndmask_b32_e32 v1, 0, v1, vcc
	v_fmac_f32_e32 v1, v137, v2
	v_mul_u32_u24_e32 v2, 0x10001, v3
	v_pk_mul_f16 v22, v22, v2
	v_pk_mul_f16 v23, v23, v2
	;; [unrolled: 1-line block ×4, first 2 shown]
	v_mov_b32_e32 v137, v1
.LBB27_44:
	s_or_b64 exec, exec, s[4:5]
	s_and_saveexec_b64 s[4:5], s[14:15]
; %bb.45:
	v_mov_b32_e32 v0, 0xfeffffff
	v_mov_b32_e32 v1, 0
	v_add_u32_e32 v2, 0x800, v136
	ds_write2_b32 v2, v0, v1 offset1:32
; %bb.46:
	s_or_b64 exec, exec, s[4:5]
	v_cmp_eq_u32_e32 vcc, 0, v131
	v_lshlrev_b32_e32 v4, 2, v129
	s_waitcnt lgkmcnt(0)
	s_barrier
	s_and_saveexec_b64 s[4:5], vcc
; %bb.47:
	ds_write_b32 v4, v154 offset:2048
; %bb.48:
	s_or_b64 exec, exec, s[4:5]
	v_mbcnt_hi_u32_b32 v0, -1, v132
	v_and_b32_e32 v1, 0x60, v0
	s_waitcnt lgkmcnt(0)
	s_barrier
	v_add_u32_e32 v3, 32, v1
	ds_read_b32 v1, v136 offset:2048
	v_xor_b32_e32 v2, 16, v0
	v_cmp_lt_i32_e64 s[4:5], v2, v3
	v_xor_b32_e32 v6, 8, v0
	v_xor_b32_e32 v9, 1, v0
	v_cndmask_b32_e64 v2, v0, v2, s[4:5]
	v_lshlrev_b32_e32 v5, 2, v2
	s_waitcnt lgkmcnt(0)
	ds_bpermute_b32 v2, v5, v1
	v_cmp_lt_i32_e64 s[4:5], v6, v3
	v_max_f32_e32 v1, v1, v1
	v_lshlrev_b32_e32 v14, 3, v131
	v_cndmask_b32_e64 v6, v0, v6, s[4:5]
	s_waitcnt lgkmcnt(0)
	v_max_f32_e32 v2, v2, v2
	v_lshlrev_b32_e32 v6, 2, v6
	v_max_f32_e32 v2, v1, v2
	ds_bpermute_b32 v7, v6, v2
	v_xor_b32_e32 v1, 4, v0
	v_cmp_lt_i32_e64 s[4:5], v1, v3
	s_waitcnt lgkmcnt(0)
	v_max_f32_e32 v7, v7, v7
	v_cndmask_b32_e64 v1, v0, v1, s[4:5]
	v_lshlrev_b32_e32 v1, 2, v1
	v_max_f32_e32 v7, v2, v7
	ds_bpermute_b32 v8, v1, v7
	v_xor_b32_e32 v2, 2, v0
	v_cmp_lt_i32_e64 s[4:5], v2, v3
	s_waitcnt lgkmcnt(0)
	v_max_f32_e32 v8, v8, v8
	v_cndmask_b32_e64 v2, v0, v2, s[4:5]
	v_lshlrev_b32_e32 v2, 2, v2
	v_max_f32_e32 v7, v7, v8
	ds_bpermute_b32 v8, v2, v7
	v_cmp_lt_i32_e64 s[4:5], v9, v3
	s_nop 1
	v_cndmask_b32_e64 v0, v0, v9, s[4:5]
	v_lshlrev_b32_e32 v3, 2, v0
	s_waitcnt lgkmcnt(0)
	v_max_f32_e32 v0, v8, v8
	v_max_f32_e32 v0, v7, v0
	ds_bpermute_b32 v7, v3, v0
	s_mov_b32 s4, 0x3fb8aa3b
	s_waitcnt lgkmcnt(0)
	v_max_f32_e32 v7, v7, v7
	v_max_f32_e32 v0, v0, v7
	v_sub_f32_e32 v7, v154, v0
	v_mul_f32_e32 v8, 0x3fb8aa3b, v7
	v_fma_f32 v9, v7, s4, -v8
	v_rndne_f32_e32 v10, v8
	v_fmamk_f32 v9, v7, 0x32a5705f, v9
	v_sub_f32_e32 v8, v8, v10
	v_add_f32_e32 v8, v8, v9
	v_exp_f32_e32 v8, v8
	v_cvt_i32_f32_e32 v9, v10
	s_mov_b32 s4, 0xc2ce8ed0
	v_cmp_ngt_f32_e64 s[4:5], s4, v7
	v_ldexp_f32 v8, v8, v9
	s_nop 0
	v_cndmask_b32_e64 v8, 0, v8, s[4:5]
	s_mov_b32 s4, 0x42b17218
	v_mov_b32_e32 v9, 0x7f800000
	v_cmp_nlt_f32_e64 s[4:5], s4, v7
	s_nop 1
	v_cndmask_b32_e64 v7, v9, v8, s[4:5]
	v_mul_f32_e32 v8, v137, v7
	ds_bpermute_b32 v8, v5, v8
	s_load_dword s4, s[0:1], 0xd4
	s_waitcnt lgkmcnt(0)
	v_fmac_f32_e32 v8, v137, v7
	ds_bpermute_b32 v9, v6, v8
	v_cvt_f16_f32_e32 v7, v7
	s_waitcnt lgkmcnt(0)
	v_add_f32_e32 v8, v8, v9
	ds_bpermute_b32 v9, v1, v8
	v_mul_u32_u24_e32 v13, 0x10001, v7
	v_pk_mul_f16 v10, v22, v13
	v_pk_mul_f16 v11, v23, v13
	;; [unrolled: 1-line block ×3, first 2 shown]
	s_waitcnt lgkmcnt(0)
	v_add_f32_e32 v8, v8, v9
	ds_bpermute_b32 v9, v2, v8
	v_pk_mul_f16 v13, v24, v13
	s_waitcnt lgkmcnt(0)
	v_add_f32_e32 v7, v8, v9
	ds_bpermute_b32 v8, v3, v7
	v_lshl_add_u32 v9, v129, 9, v14
	ds_write2_b64 v9, v[10:11], v[12:13] offset1:32
	s_and_saveexec_b64 s[0:1], vcc
	s_cbranch_execz .LBB27_50
; %bb.49:
	s_waitcnt lgkmcnt(1)
	v_add_f32_e32 v7, v7, v8
	ds_write_b32 v4, v7 offset:2176
.LBB27_50:
	s_or_b64 exec, exec, s[0:1]
	s_waitcnt lgkmcnt(0)
	s_barrier
	ds_read_b32 v4, v136 offset:2176
	s_mul_i32 s0, s33, s34
	s_add_i32 s0, s0, s2
	s_mul_i32 s0, s0, s35
	s_add_i32 s0, s0, s40
	s_waitcnt lgkmcnt(0)
	ds_bpermute_b32 v5, v5, v4
	s_mul_i32 s0, s4, s0
	s_add_i32 s2, s0, s3
	s_cmp_eq_u32 s4, 1
	s_waitcnt lgkmcnt(0)
	v_add_f32_e32 v4, v4, v5
	ds_bpermute_b32 v5, v6, v4
	ds_read_u16 v6, v135
	ds_read_u16 v7, v135 offset:512
	ds_read_u16 v8, v135 offset:1024
	;; [unrolled: 1-line block ×7, first 2 shown]
	s_waitcnt lgkmcnt(8)
	v_add_f32_e32 v4, v4, v5
	ds_bpermute_b32 v1, v1, v4
	s_waitcnt lgkmcnt(7)
	v_cvt_f32_f16_e32 v5, v7
	s_waitcnt lgkmcnt(0)
	v_add_f32_e32 v1, v4, v1
	ds_bpermute_b32 v2, v2, v1
	v_cvt_f32_f16_e32 v4, v6
	v_cvt_f32_f16_e32 v6, v8
	s_waitcnt lgkmcnt(0)
	v_add_f32_e32 v1, v1, v2
	ds_bpermute_b32 v2, v3, v1
	v_cvt_f32_f16_e32 v3, v9
	v_add_f32_e32 v4, 0, v4
	v_add_f32_e32 v4, v4, v5
	v_mov_b32_e32 v5, s29
	s_waitcnt lgkmcnt(0)
	v_add_f32_e32 v1, v1, v2
	v_add_f32_e32 v2, v4, v6
	;; [unrolled: 1-line block ×3, first 2 shown]
	v_div_scale_f32 v6, s[0:1], v1, v1, v3
	v_rcp_f32_e32 v7, v6
	s_cselect_b64 s[0:1], -1, 0
	v_lshl_or_b32 v2, s2, 8, v134
	v_mov_b32_e32 v4, s28
	v_fma_f32 v8, -v6, v7, 1.0
	v_fmac_f32_e32 v7, v8, v7
	v_div_scale_f32 v8, vcc, v3, v1, v3
	v_mul_f32_e32 v9, v8, v7
	v_fma_f32 v14, -v6, v9, v8
	v_fmac_f32_e32 v9, v14, v7
	v_fma_f32 v6, -v6, v9, v8
	v_div_fmas_f32 v6, v6, v7, v9
	v_div_fixup_f32 v6, v6, v1, v3
	v_cndmask_b32_e64 v6, v3, v6, s[0:1]
	v_cvt_f32_f16_e32 v3, v13
	v_cvt_f32_f16_e32 v7, v12
	;; [unrolled: 1-line block ×4, first 2 shown]
	v_add_f32_e32 v3, 0, v3
	v_add_f32_e32 v3, v3, v7
	;; [unrolled: 1-line block ×4, first 2 shown]
	v_div_scale_f32 v8, s[6:7], v1, v1, v7
	v_rcp_f32_e32 v9, v8
	v_mov_b32_e32 v3, 0
	v_lshl_add_u64 v[4:5], v[2:3], 2, v[4:5]
	global_store_dword v[4:5], v6, off
	v_fma_f32 v2, -v8, v9, 1.0
	v_fmac_f32_e32 v9, v2, v9
	v_div_scale_f32 v2, vcc, v7, v1, v7
	v_mul_f32_e32 v6, v2, v9
	v_fma_f32 v10, -v8, v6, v2
	v_fmac_f32_e32 v6, v10, v9
	v_fma_f32 v2, -v8, v6, v2
	v_div_fmas_f32 v2, v2, v9, v6
	v_div_fixup_f32 v2, v2, v1, v7
	s_cmp_lg_u32 s4, 1
	v_cndmask_b32_e64 v2, v7, v2, s[0:1]
	s_cselect_b64 s[0:1], -1, 0
	v_cmp_eq_u32_e32 vcc, 0, v134
	s_and_b64 s[0:1], vcc, s[0:1]
	global_store_dword v[4:5], v2, off offset:512
	s_and_saveexec_b64 s[4:5], s[0:1]
	s_cbranch_execz .LBB27_52
; %bb.51:
	s_mov_b32 s3, 0
	s_lshl_b64 s[0:1], s[2:3], 3
	s_add_u32 s0, s30, s0
	s_addc_u32 s1, s31, s1
	global_store_dwordx2 v3, v[0:1], s[0:1]
.LBB27_52:
	s_endpgm
	.section	.rodata,"a",@progbits
	.p2align	6, 0x0
	.amdhsa_kernel _ZL18flash_attn_ext_vecILi256ELi1EL9ggml_type7ELS0_7ELb1EEvPKcS2_S2_S2_S2_PKiPfP15HIP_vector_typeIfLj2EEffffjfiS6_IjLj3EEiiiiiiiiiiiliiliiiiil
		.amdhsa_group_segment_fixed_size 2304
		.amdhsa_private_segment_fixed_size 0
		.amdhsa_kernarg_size 464
		.amdhsa_user_sgpr_count 2
		.amdhsa_user_sgpr_dispatch_ptr 0
		.amdhsa_user_sgpr_queue_ptr 0
		.amdhsa_user_sgpr_kernarg_segment_ptr 1
		.amdhsa_user_sgpr_dispatch_id 0
		.amdhsa_user_sgpr_kernarg_preload_length 0
		.amdhsa_user_sgpr_kernarg_preload_offset 0
		.amdhsa_user_sgpr_private_segment_size 0
		.amdhsa_uses_dynamic_stack 0
		.amdhsa_enable_private_segment 0
		.amdhsa_system_sgpr_workgroup_id_x 1
		.amdhsa_system_sgpr_workgroup_id_y 1
		.amdhsa_system_sgpr_workgroup_id_z 1
		.amdhsa_system_sgpr_workgroup_info 0
		.amdhsa_system_vgpr_workitem_id 1
		.amdhsa_next_free_vgpr 167
		.amdhsa_next_free_sgpr 56
		.amdhsa_accum_offset 168
		.amdhsa_reserve_vcc 1
		.amdhsa_float_round_mode_32 0
		.amdhsa_float_round_mode_16_64 0
		.amdhsa_float_denorm_mode_32 3
		.amdhsa_float_denorm_mode_16_64 3
		.amdhsa_dx10_clamp 1
		.amdhsa_ieee_mode 1
		.amdhsa_fp16_overflow 0
		.amdhsa_tg_split 0
		.amdhsa_exception_fp_ieee_invalid_op 0
		.amdhsa_exception_fp_denorm_src 0
		.amdhsa_exception_fp_ieee_div_zero 0
		.amdhsa_exception_fp_ieee_overflow 0
		.amdhsa_exception_fp_ieee_underflow 0
		.amdhsa_exception_fp_ieee_inexact 0
		.amdhsa_exception_int_div_zero 0
	.end_amdhsa_kernel
	.section	.text._ZL18flash_attn_ext_vecILi256ELi1EL9ggml_type7ELS0_7ELb1EEvPKcS2_S2_S2_S2_PKiPfP15HIP_vector_typeIfLj2EEffffjfiS6_IjLj3EEiiiiiiiiiiiliiliiiiil,"axG",@progbits,_ZL18flash_attn_ext_vecILi256ELi1EL9ggml_type7ELS0_7ELb1EEvPKcS2_S2_S2_S2_PKiPfP15HIP_vector_typeIfLj2EEffffjfiS6_IjLj3EEiiiiiiiiiiiliiliiiiil,comdat
.Lfunc_end27:
	.size	_ZL18flash_attn_ext_vecILi256ELi1EL9ggml_type7ELS0_7ELb1EEvPKcS2_S2_S2_S2_PKiPfP15HIP_vector_typeIfLj2EEffffjfiS6_IjLj3EEiiiiiiiiiiiliiliiiiil, .Lfunc_end27-_ZL18flash_attn_ext_vecILi256ELi1EL9ggml_type7ELS0_7ELb1EEvPKcS2_S2_S2_S2_PKiPfP15HIP_vector_typeIfLj2EEffffjfiS6_IjLj3EEiiiiiiiiiiiliiliiiiil
                                        ; -- End function
	.set _ZL18flash_attn_ext_vecILi256ELi1EL9ggml_type7ELS0_7ELb1EEvPKcS2_S2_S2_S2_PKiPfP15HIP_vector_typeIfLj2EEffffjfiS6_IjLj3EEiiiiiiiiiiiliiliiiiil.num_vgpr, 167
	.set _ZL18flash_attn_ext_vecILi256ELi1EL9ggml_type7ELS0_7ELb1EEvPKcS2_S2_S2_S2_PKiPfP15HIP_vector_typeIfLj2EEffffjfiS6_IjLj3EEiiiiiiiiiiiliiliiiiil.num_agpr, 0
	.set _ZL18flash_attn_ext_vecILi256ELi1EL9ggml_type7ELS0_7ELb1EEvPKcS2_S2_S2_S2_PKiPfP15HIP_vector_typeIfLj2EEffffjfiS6_IjLj3EEiiiiiiiiiiiliiliiiiil.numbered_sgpr, 56
	.set _ZL18flash_attn_ext_vecILi256ELi1EL9ggml_type7ELS0_7ELb1EEvPKcS2_S2_S2_S2_PKiPfP15HIP_vector_typeIfLj2EEffffjfiS6_IjLj3EEiiiiiiiiiiiliiliiiiil.num_named_barrier, 0
	.set _ZL18flash_attn_ext_vecILi256ELi1EL9ggml_type7ELS0_7ELb1EEvPKcS2_S2_S2_S2_PKiPfP15HIP_vector_typeIfLj2EEffffjfiS6_IjLj3EEiiiiiiiiiiiliiliiiiil.private_seg_size, 0
	.set _ZL18flash_attn_ext_vecILi256ELi1EL9ggml_type7ELS0_7ELb1EEvPKcS2_S2_S2_S2_PKiPfP15HIP_vector_typeIfLj2EEffffjfiS6_IjLj3EEiiiiiiiiiiiliiliiiiil.uses_vcc, 1
	.set _ZL18flash_attn_ext_vecILi256ELi1EL9ggml_type7ELS0_7ELb1EEvPKcS2_S2_S2_S2_PKiPfP15HIP_vector_typeIfLj2EEffffjfiS6_IjLj3EEiiiiiiiiiiiliiliiiiil.uses_flat_scratch, 0
	.set _ZL18flash_attn_ext_vecILi256ELi1EL9ggml_type7ELS0_7ELb1EEvPKcS2_S2_S2_S2_PKiPfP15HIP_vector_typeIfLj2EEffffjfiS6_IjLj3EEiiiiiiiiiiiliiliiiiil.has_dyn_sized_stack, 0
	.set _ZL18flash_attn_ext_vecILi256ELi1EL9ggml_type7ELS0_7ELb1EEvPKcS2_S2_S2_S2_PKiPfP15HIP_vector_typeIfLj2EEffffjfiS6_IjLj3EEiiiiiiiiiiiliiliiiiil.has_recursion, 0
	.set _ZL18flash_attn_ext_vecILi256ELi1EL9ggml_type7ELS0_7ELb1EEvPKcS2_S2_S2_S2_PKiPfP15HIP_vector_typeIfLj2EEffffjfiS6_IjLj3EEiiiiiiiiiiiliiliiiiil.has_indirect_call, 0
	.section	.AMDGPU.csdata,"",@progbits
; Kernel info:
; codeLenInByte = 30588
; TotalNumSgprs: 62
; NumVgprs: 167
; NumAgprs: 0
; TotalNumVgprs: 167
; ScratchSize: 0
; MemoryBound: 0
; FloatMode: 240
; IeeeMode: 1
; LDSByteSize: 2304 bytes/workgroup (compile time only)
; SGPRBlocks: 7
; VGPRBlocks: 20
; NumSGPRsForWavesPerEU: 62
; NumVGPRsForWavesPerEU: 167
; AccumOffset: 168
; Occupancy: 3
; WaveLimiterHint : 0
; COMPUTE_PGM_RSRC2:SCRATCH_EN: 0
; COMPUTE_PGM_RSRC2:USER_SGPR: 2
; COMPUTE_PGM_RSRC2:TRAP_HANDLER: 0
; COMPUTE_PGM_RSRC2:TGID_X_EN: 1
; COMPUTE_PGM_RSRC2:TGID_Y_EN: 1
; COMPUTE_PGM_RSRC2:TGID_Z_EN: 1
; COMPUTE_PGM_RSRC2:TIDIG_COMP_CNT: 1
; COMPUTE_PGM_RSRC3_GFX90A:ACCUM_OFFSET: 41
; COMPUTE_PGM_RSRC3_GFX90A:TG_SPLIT: 0
	.section	.text._ZL18flash_attn_ext_vecILi256ELi2EL9ggml_type7ELS0_7ELb0EEvPKcS2_S2_S2_S2_PKiPfP15HIP_vector_typeIfLj2EEffffjfiS6_IjLj3EEiiiiiiiiiiiliiliiiiil,"axG",@progbits,_ZL18flash_attn_ext_vecILi256ELi2EL9ggml_type7ELS0_7ELb0EEvPKcS2_S2_S2_S2_PKiPfP15HIP_vector_typeIfLj2EEffffjfiS6_IjLj3EEiiiiiiiiiiiliiliiiiil,comdat
	.globl	_ZL18flash_attn_ext_vecILi256ELi2EL9ggml_type7ELS0_7ELb0EEvPKcS2_S2_S2_S2_PKiPfP15HIP_vector_typeIfLj2EEffffjfiS6_IjLj3EEiiiiiiiiiiiliiliiiiil ; -- Begin function _ZL18flash_attn_ext_vecILi256ELi2EL9ggml_type7ELS0_7ELb0EEvPKcS2_S2_S2_S2_PKiPfP15HIP_vector_typeIfLj2EEffffjfiS6_IjLj3EEiiiiiiiiiiiliiliiiiil
	.p2align	8
	.type	_ZL18flash_attn_ext_vecILi256ELi2EL9ggml_type7ELS0_7ELb0EEvPKcS2_S2_S2_S2_PKiPfP15HIP_vector_typeIfLj2EEffffjfiS6_IjLj3EEiiiiiiiiiiiliiliiiiil,@function
_ZL18flash_attn_ext_vecILi256ELi2EL9ggml_type7ELS0_7ELb0EEvPKcS2_S2_S2_S2_PKiPfP15HIP_vector_typeIfLj2EEffffjfiS6_IjLj3EEiiiiiiiiiiiliiliiiiil: ; @_ZL18flash_attn_ext_vecILi256ELi2EL9ggml_type7ELS0_7ELb0EEvPKcS2_S2_S2_S2_PKiPfP15HIP_vector_typeIfLj2EEffffjfiS6_IjLj3EEiiiiiiiiiiiliiliiiiil
; %bb.0:
	s_load_dwordx2 s[34:35], s[2:3], 0x64
	s_load_dwordx2 s[46:47], s[2:3], 0x80
	;; [unrolled: 1-line block ×3, first 2 shown]
	s_load_dwordx4 s[28:31], s[2:3], 0x40
	v_mov_b32_e32 v194, 1.0
	s_waitcnt lgkmcnt(0)
	v_cvt_f32_u32_e32 v1, s35
	s_sub_i32 s7, 0, s35
	v_rcp_iflag_f32_e32 v1, v1
	s_nop 0
	v_mul_f32_e32 v1, 0x4f7ffffe, v1
	v_cvt_u32_f32_e32 v1, v1
	s_nop 0
	v_readfirstlane_b32 s8, v1
	s_mul_i32 s7, s7, s8
	s_mul_hi_u32 s7, s8, s7
	s_add_i32 s8, s8, s7
	s_mul_hi_u32 s7, s6, s8
	s_mul_i32 s8, s7, s35
	s_sub_i32 s8, s6, s8
	s_add_i32 s9, s7, 1
	s_sub_i32 s12, s8, s35
	s_cmp_ge_u32 s8, s35
	s_cselect_b32 s7, s9, s7
	s_cselect_b32 s8, s12, s8
	s_add_i32 s9, s7, 1
	s_cmp_ge_u32 s8, s35
	s_cselect_b32 s48, s9, s7
	s_abs_i32 s7, s47
	v_cvt_f32_u32_e32 v1, s7
	s_mul_i32 s12, s48, s35
	s_sub_i32 s13, 0, s7
	s_sub_i32 s36, s6, s12
	v_rcp_iflag_f32_e32 v1, v1
	s_abs_i32 s9, s35
	s_xor_b32 s8, s35, s47
	s_ashr_i32 s8, s8, 31
	v_mul_f32_e32 v1, 0x4f7ffffe, v1
	v_cvt_u32_f32_e32 v1, v1
	s_nop 0
	v_readfirstlane_b32 s6, v1
	s_mul_i32 s13, s13, s6
	s_mul_hi_u32 s12, s6, s13
	s_add_i32 s6, s6, s12
	s_mul_hi_u32 s6, s9, s6
	s_mul_i32 s12, s6, s7
	s_sub_i32 s9, s9, s12
	s_add_i32 s13, s6, 1
	s_sub_i32 s12, s9, s7
	s_cmp_ge_u32 s9, s7
	s_cselect_b32 s6, s13, s6
	s_cselect_b32 s9, s12, s9
	s_add_i32 s12, s6, 1
	s_cmp_ge_u32 s9, s7
	s_cselect_b32 s6, s12, s6
	s_xor_b32 s6, s6, s8
	s_sub_i32 s41, s6, s8
	s_abs_i32 s10, s10
	s_abs_i32 s40, s41
	v_cvt_f32_u32_e32 v1, s10
	v_cvt_f32_u32_e32 v2, s40
	s_load_dword s6, s[2:3], 0x50
	v_cmp_le_f32_e64 s[8:9], s29, 0
	v_rcp_iflag_f32_e32 v1, v1
	v_rcp_iflag_f32_e32 v2, v2
	s_mov_b32 s38, s28
	s_mov_b32 s39, s29
	v_mul_f32_e32 v1, 0x4f7ffffe, v1
	v_mul_f32_e32 v2, 0x4f7ffffe, v2
	v_cvt_u32_f32_e32 v1, v1
	v_cvt_u32_f32_e32 v2, v2
	s_and_b64 vcc, exec, s[8:9]
	v_readfirstlane_b32 s42, v1
	v_readfirstlane_b32 s43, v2
	s_cbranch_vccnz .LBB28_2
; %bb.1:
	s_waitcnt lgkmcnt(0)
	v_mov_b32_e32 v1, s6
	v_sub_co_u32_e32 v1, vcc, s36, v1
	v_mov_b32_e32 v2, s31
	v_mov_b32_e32 v3, s30
	s_add_i32 s6, s36, 1
	v_lshlrev_b32_e32 v1, 1, v1
	v_cndmask_b32_e32 v2, v2, v3, vcc
	v_or_b32_e32 v1, 1, v1
	v_mov_b32_e32 v3, s6
	v_cndmask_b32_e32 v1, v1, v3, vcc
	v_cvt_f32_i32_e32 v1, v1
	v_cmp_neq_f32_e32 vcc, 1.0, v2
	s_mov_b32 s6, 0x3f2aaaab
	s_movk_i32 s8, 0x204
	v_cndmask_b32_e32 v1, 1.0, v1, vcc
	v_cmp_neq_f32_e32 vcc, 0, v1
	s_mov_b32 s7, 0x42b17218
	s_mov_b32 s9, 0x3fb8aa3b
	v_cndmask_b32_e32 v18, 1.0, v2, vcc
	v_frexp_mant_f32_e64 v2, |v18|
	v_cmp_gt_f32_e32 vcc, s6, v2
	s_mov_b32 s6, 0x3f317218
	s_brev_b32 s14, -2
	v_cndmask_b32_e64 v3, 1.0, 2.0, vcc
	v_mul_f32_e32 v2, v2, v3
	v_add_f32_e32 v5, 1.0, v2
	v_rcp_f32_e32 v10, v5
	v_add_f32_e32 v3, -1.0, v5
	v_sub_f32_e32 v7, v2, v3
	v_add_f32_e32 v3, -1.0, v2
	v_mul_f32_e32 v11, v3, v10
	v_mul_f32_e32 v4, v5, v11
	v_fma_f32 v6, v11, v5, -v4
	v_fmac_f32_e32 v6, v11, v7
	v_add_f32_e32 v2, v4, v6
	v_sub_f32_e32 v5, v3, v2
	v_pk_add_f32 v[8:9], v[2:3], v[4:5] neg_lo:[0,1] neg_hi:[0,1]
	v_mov_b32_e32 v7, v2
	v_pk_add_f32 v[2:3], v[8:9], v[6:7] neg_lo:[0,1] neg_hi:[0,1]
	v_mov_b32_e32 v6, 0x3e91f4c4
	v_add_f32_e32 v2, v2, v3
	v_add_f32_e32 v2, v5, v2
	v_mul_f32_e32 v3, v10, v2
	v_add_f32_e32 v2, v11, v3
	v_sub_f32_e32 v4, v2, v11
	v_sub_f32_e32 v12, v3, v4
	v_mul_f32_e32 v3, v2, v2
	v_fma_f32 v5, v2, v2, -v3
	v_add_f32_e32 v4, v12, v12
	v_fmac_f32_e32 v5, v2, v4
	v_add_f32_e32 v4, v3, v5
	v_fmac_f32_e32 v6, 0x3e76c4e1, v4
	v_fmaak_f32 v6, v4, v6, 0x3ecccdef
	v_sub_f32_e32 v3, v4, v3
	v_sub_f32_e32 v13, v5, v3
	v_mul_f32_e32 v3, v4, v6
	v_fma_f32 v5, v4, v6, -v3
	v_fmac_f32_e32 v5, v13, v6
	v_add_f32_e32 v6, v3, v5
	v_add_f32_e32 v7, 0x3f2aaaaa, v6
	v_sub_f32_e32 v3, v6, v3
	v_sub_f32_e32 v3, v5, v3
	v_add_f32_e32 v5, 0xbf2aaaaa, v7
	v_add_f32_e32 v3, 0x31739010, v3
	v_sub_f32_e32 v5, v6, v5
	v_pk_mul_f32 v[8:9], v[2:3], v[4:5]
	v_pk_add_f32 v[10:11], v[2:3], v[4:5]
	v_fma_f32 v6, v4, v2, -v8
	v_fmac_f32_e32 v6, v4, v12
	v_mov_b32_e32 v9, v11
	v_fmac_f32_e32 v6, v13, v2
	v_pk_add_f32 v[4:5], v[8:9], v[6:7]
	v_ldexp_f32 v14, v12, 1
	v_sub_f32_e32 v3, v4, v8
	v_sub_f32_e32 v3, v6, v3
	;; [unrolled: 1-line block ×3, first 2 shown]
	v_add_f32_e32 v9, v11, v6
	v_pk_mul_f32 v[6:7], v[4:5], v[4:5] op_sel:[0,1] op_sel_hi:[1,0]
	v_cvt_f64_f32_e64 v[10:11], |v18|
	v_frexp_exp_i32_f64_e32 v7, v[10:11]
	v_subbrev_co_u32_e32 v7, vcc, 0, v7, vcc
	v_cvt_f32_i32_e32 v7, v7
	v_fma_f32 v8, v4, v5, -v6
	v_fmac_f32_e32 v8, v4, v9
	v_fmac_f32_e32 v8, v3, v5
	v_mul_f32_e32 v4, 0x3f317218, v7
	v_fma_f32 v3, v7, s6, -v4
	v_fmamk_f32 v10, v7, 0xb102e308, v3
	v_ldexp_f32 v11, v2, 1
	v_add_f32_e32 v5, v6, v8
	v_pk_add_f32 v[2:3], v[4:5], v[10:11]
	v_mov_b32_e32 v12, v5
	v_mov_b32_e32 v13, v3
	;; [unrolled: 1-line block ×3, first 2 shown]
	v_pk_add_f32 v[6:7], v[12:13], v[6:7] neg_lo:[0,1] neg_hi:[0,1]
	v_mov_b32_e32 v9, v5
	v_pk_add_f32 v[6:7], v[8:9], v[6:7] neg_lo:[0,1] neg_hi:[0,1]
	v_mov_b32_e32 v11, v2
	v_add_f32_e32 v5, v14, v6
	v_add_f32_e32 v5, v5, v7
	v_pk_add_f32 v[6:7], v[2:3], v[4:5] neg_lo:[0,1] neg_hi:[0,1]
	v_pk_add_f32 v[8:9], v[2:3], v[4:5]
	v_mov_b32_e32 v16, v3
	v_mov_b32_e32 v7, v9
	v_pk_add_f32 v[12:13], v[10:11], v[6:7] neg_lo:[0,1] neg_hi:[0,1]
	v_pk_add_f32 v[6:7], v[10:11], v[6:7]
	v_mov_b32_e32 v4, v5
	v_pk_add_f32 v[10:11], v[6:7], v[2:3] op_sel:[1,0] op_sel_hi:[0,1] neg_lo:[0,1] neg_hi:[0,1]
	v_pk_add_f32 v[14:15], v[8:9], v[10:11] op_sel_hi:[1,0] neg_lo:[0,1] neg_hi:[0,1]
	v_mov_b32_e32 v8, v9
	v_mov_b32_e32 v9, v7
	;; [unrolled: 1-line block ×3, first 2 shown]
	v_pk_add_f32 v[8:9], v[8:9], v[16:17] neg_lo:[0,1] neg_hi:[0,1]
	v_mov_b32_e32 v5, v2
	v_pk_add_f32 v[2:3], v[4:5], v[8:9] neg_lo:[0,1] neg_hi:[0,1]
	v_mov_b32_e32 v14, v12
	v_pk_add_f32 v[4:5], v[14:15], v[2:3]
	v_mov_b32_e32 v13, v7
	v_pk_add_f32 v[8:9], v[4:5], v[4:5] op_sel:[0,1] op_sel_hi:[1,0]
	s_mov_b32 s6, 0x7f800000
	v_pk_add_f32 v[6:7], v[6:7], v[8:9] op_sel:[1,0] op_sel_hi:[0,1]
	v_mov_b32_e32 v5, v6
	v_pk_add_f32 v[10:11], v[4:5], v[12:13] neg_lo:[0,1] neg_hi:[0,1]
	v_mov_b32_e32 v3, v8
	v_sub_f32_e32 v4, v4, v10
	v_pk_add_f32 v[2:3], v[2:3], v[10:11] neg_lo:[0,1] neg_hi:[0,1]
	v_sub_f32_e32 v4, v12, v4
	v_add_f32_e32 v2, v2, v4
	v_add_f32_e32 v2, v2, v3
	;; [unrolled: 1-line block ×3, first 2 shown]
	v_sub_f32_e32 v4, v3, v6
	v_sub_f32_e32 v2, v2, v4
	v_mul_f32_e32 v4, v1, v3
	v_fma_f32 v3, v1, v3, -v4
	v_fmac_f32_e32 v3, v1, v2
	v_add_f32_e32 v2, v4, v3
	v_cmp_class_f32_e64 vcc, v4, s8
	v_sub_f32_e32 v5, v2, v4
	v_sub_f32_e32 v3, v3, v5
	v_cndmask_b32_e32 v2, v2, v4, vcc
	v_mov_b32_e32 v4, 0x37000000
	v_cmp_eq_f32_e32 vcc, s7, v2
	v_cmp_class_f32_e64 s[12:13], v18, s8
	s_nop 0
	v_cndmask_b32_e32 v4, 0, v4, vcc
	v_sub_f32_e32 v5, v2, v4
	v_mul_f32_e32 v6, 0x3fb8aa3b, v5
	v_fma_f32 v7, v5, s9, -v6
	v_rndne_f32_e32 v8, v6
	v_fmamk_f32 v7, v5, 0x32a5705f, v7
	v_sub_f32_e32 v6, v6, v8
	v_add_f32_e32 v6, v6, v7
	v_exp_f32_e32 v6, v6
	v_cvt_i32_f32_e32 v7, v8
	v_cmp_neq_f32_e64 vcc, |v2|, s6
	s_mov_b32 s6, 0xc2ce8ed0
	s_nop 0
	v_cndmask_b32_e32 v2, 0, v3, vcc
	v_ldexp_f32 v3, v6, v7
	v_cmp_ngt_f32_e32 vcc, s6, v5
	v_add_f32_e32 v2, v4, v2
	v_mov_b32_e32 v4, 0x7f800000
	v_cndmask_b32_e32 v3, 0, v3, vcc
	v_cmp_nlt_f32_e32 vcc, s7, v5
	v_mov_b32_e32 v5, 0x7fc00000
	s_nop 0
	v_cndmask_b32_e32 v3, v4, v3, vcc
	v_fma_f32 v2, v3, v2, v3
	v_cmp_class_f32_e64 vcc, v3, s8
	v_cmp_gt_f32_e64 s[8:9], 0, v1
	s_nop 0
	v_cndmask_b32_e32 v2, v2, v3, vcc
	v_trunc_f32_e32 v3, v1
	v_cmp_eq_f32_e32 vcc, v3, v1
	v_mul_f32_e32 v3, 0.5, v1
	v_trunc_f32_e32 v6, v3
	v_cmp_neq_f32_e64 s[6:7], v6, v3
	s_and_b64 s[6:7], vcc, s[6:7]
	s_nop 0
	v_cndmask_b32_e64 v3, 1.0, v18, s[6:7]
	v_bfi_b32 v2, s14, v2, v3
	v_cndmask_b32_e32 v3, v5, v2, vcc
	v_cmp_gt_f32_e32 vcc, 0, v18
	s_nop 1
	v_cndmask_b32_e32 v2, v2, v3, vcc
	v_cmp_eq_f32_e32 vcc, 0, v18
	s_xor_b64 s[8:9], s[8:9], vcc
	v_cndmask_b32_e64 v1, v4, 0, s[8:9]
	v_cndmask_b32_e64 v3, 0, v18, s[6:7]
	v_bfi_b32 v1, s14, v1, v3
	s_or_b64 vcc, vcc, s[12:13]
	v_cndmask_b32_e32 v1, v2, v1, vcc
	v_cmp_o_f32_e32 vcc, v18, v18
	s_nop 1
	v_cndmask_b32_e32 v194, v5, v1, vcc
.LBB28_2:
	s_waitcnt lgkmcnt(0)
	s_load_dwordx2 s[6:7], s[0:1], 0x4
	s_load_dwordx16 s[12:27], s[2:3], 0x0
	v_bfe_u32 v175, v0, 10, 10
	v_and_b32_e32 v173, 0x3ff, v0
	v_bfe_u32 v0, v0, 20, 10
	s_waitcnt lgkmcnt(0)
	s_lshr_b32 s0, s6, 16
	v_mul_u32_u24_e32 v1, s7, v175
	s_mul_i32 s0, s0, s7
	v_mad_u32_u24 v1, s0, v173, v1
	v_add_lshl_u32 v32, v1, v0, 5
	v_mov_b32_e32 v28, 0
	v_add_u32_e32 v0, 0xa04, v32
	ds_write2_b32 v0, v28, v28 offset1:1
	v_add_u32_e32 v0, 0xa0c, v32
	ds_write2_b32 v0, v28, v28 offset1:1
	v_add_u32_e32 v0, 0xa14, v32
	s_lshl_b32 s33, s4, 1
	ds_write2_b32 v0, v28, v28 offset1:1
	v_add_u32_e32 v0, 0x800, v32
	v_cmp_lt_u32_e64 s[0:1], 1, v175
	v_cmp_gt_u32_e32 vcc, 2, v175
	v_lshlrev_b32_e32 v190, 9, v175
	v_lshlrev_b32_e32 v192, 2, v173
	ds_write2_b32 v0, v28, v28 offset0:128 offset1:135
	s_and_saveexec_b64 s[8:9], vcc
	s_cbranch_execz .LBB28_17
; %bb.3:
	v_or_b32_e32 v0, s33, v175
	v_cmp_le_i32_e32 vcc, s34, v0
	v_lshl_add_u32 v0, v173, 3, v190
	v_sub_u32_e32 v1, 0, v192
	v_add_u32_e32 v6, v190, v173
	v_add_u32_e32 v7, v0, v1
	s_and_saveexec_b64 s[6:7], vcc
	s_xor_b64 s[6:7], exec, s[6:7]
	s_cbranch_execz .LBB28_7
; %bb.4:
	v_cmp_gt_u32_e32 vcc, 8, v173
	v_mov_b32_e32 v2, 0
	v_mad_u32_u24 v1, v173, 3, v6
	ds_write_b32 v7, v2
	ds_write_b32 v1, v2 offset:128
	s_and_saveexec_b64 s[30:31], vcc
; %bb.5:
	v_mov_b32_e32 v3, v2
	ds_write_b64 v0, v[2:3] offset:256
; %bb.6:
	s_or_b64 exec, exec, s[30:31]
                                        ; implicit-def: $vgpr7
                                        ; implicit-def: $vgpr6
.LBB28_7:
	s_andn2_saveexec_b64 s[6:7], s[6:7]
	s_cbranch_execz .LBB28_17
; %bb.8:
	s_load_dwordx4 s[52:55], s[2:3], 0x70
	v_lshlrev_b32_e32 v4, 2, v192
	v_mov_b32_e32 v5, 0
	v_mbcnt_lo_u32_b32 v2, -1, 0
	s_waitcnt lgkmcnt(0)
	s_mul_i32 s6, s48, s54
	s_mul_i32 s29, s52, s33
	;; [unrolled: 1-line block ×3, first 2 shown]
	s_add_i32 s6, s6, s29
	s_add_i32 s6, s6, s7
	s_ashr_i32 s7, s6, 31
	v_mul_lo_u32 v0, s52, v175
	s_add_u32 s6, s12, s6
	v_ashrrev_i32_e32 v1, 31, v0
	s_addc_u32 s7, s13, s7
	v_lshl_add_u64 v[0:1], s[6:7], 0, v[0:1]
	v_lshl_add_u64 v[0:1], v[0:1], 0, v[4:5]
	global_load_dwordx4 v[16:19], v[0:1], off
	v_mbcnt_hi_u32_b32 v4, -1, v2
	v_and_b32_e32 v2, 0x60, v4
	v_xor_b32_e32 v3, 4, v4
	v_add_u32_e32 v11, 32, v2
	v_xor_b32_e32 v8, 2, v4
	v_cmp_lt_i32_e32 vcc, v3, v11
	v_xor_b32_e32 v10, 1, v4
	s_mov_b32 s12, 0x42fe0000
	v_cndmask_b32_e32 v2, v4, v3, vcc
	v_cmp_lt_i32_e32 vcc, v8, v11
	v_lshlrev_b32_e32 v9, 2, v2
	s_mov_b32 s29, s28
	v_cndmask_b32_e32 v3, v4, v8, vcc
	v_lshlrev_b32_e32 v8, 2, v3
	v_cmp_lt_i32_e32 vcc, v10, v11
	s_waitcnt vmcnt(0)
	v_mov_b32_e32 v2, v19
	v_mov_b32_e32 v3, v17
	v_mul_f32_e32 v14, s28, v16
	v_pk_mul_f32 v[2:3], s[38:39], v[2:3] op_sel_hi:[0,1]
	v_mul_f32_e32 v13, s28, v18
	v_max_f32_e64 v12, |v14|, |v3|
	v_max3_f32 v12, v12, |v13|, |v2|
	ds_bpermute_b32 v15, v9, v12
	v_fma_f32 v16, s28, v16, v3
	v_fmac_f32_e32 v16, s28, v18
	v_add_f32_e32 v16, v16, v2
	ds_bpermute_b32 v17, v9, v16
	s_waitcnt lgkmcnt(1)
	v_max_f32_e32 v15, v15, v15
	v_max_f32_e32 v12, v12, v15
	ds_bpermute_b32 v15, v8, v12
	v_cndmask_b32_e32 v4, v4, v10, vcc
	v_lshlrev_b32_e32 v10, 2, v4
	s_waitcnt lgkmcnt(1)
	v_add_f32_e32 v4, v16, v17
	ds_bpermute_b32 v11, v8, v4
	s_waitcnt lgkmcnt(1)
	v_max_f32_e32 v15, v15, v15
	v_max_f32_e32 v12, v12, v15
	ds_bpermute_b32 v15, v10, v12
	s_waitcnt lgkmcnt(1)
	v_add_f32_e32 v11, v4, v11
	s_waitcnt lgkmcnt(0)
	v_max_f32_e32 v4, v15, v15
	v_max_f32_e32 v4, v12, v4
	v_div_scale_f32 v15, s[6:7], s12, s12, v4
	v_rcp_f32_e32 v16, v15
	v_div_scale_f32 v17, vcc, v4, s12, v4
	ds_bpermute_b32 v12, v10, v11
	v_fma_f32 v18, -v15, v16, 1.0
	v_fmac_f32_e32 v16, v18, v16
	v_mul_f32_e32 v18, v17, v16
	v_fma_f32 v19, -v15, v18, v17
	v_fmac_f32_e32 v18, v19, v16
	v_fma_f32 v15, -v15, v18, v17
	v_div_fmas_f32 v15, v15, v16, v18
	v_div_fixup_f32 v4, v15, s12, v4
	v_cmp_neq_f32_e32 vcc, 0, v4
	s_and_saveexec_b64 s[6:7], vcc
	s_cbranch_execz .LBB28_10
; %bb.9:
	v_div_scale_f32 v5, s[12:13], v4, v4, v14
	v_rcp_f32_e32 v15, v5
	v_div_scale_f32 v16, vcc, v14, v4, v14
	s_brev_b32 s30, -2
	v_fma_f32 v17, -v5, v15, 1.0
	v_fmac_f32_e32 v15, v17, v15
	v_mul_f32_e32 v17, v16, v15
	v_fma_f32 v18, -v5, v17, v16
	v_fmac_f32_e32 v17, v18, v15
	v_fma_f32 v5, -v5, v17, v16
	v_div_fmas_f32 v5, v5, v15, v17
	v_div_fixup_f32 v5, v5, v4, v14
	v_trunc_f32_e32 v14, v5
	v_sub_f32_e32 v15, v5, v14
	v_cmp_ge_f32_e64 s[12:13], |v15|, 0.5
	s_nop 1
	v_cndmask_b32_e64 v15, 0, 1.0, s[12:13]
	v_div_scale_f32 v16, s[12:13], v4, v4, v2
	v_rcp_f32_e32 v17, v16
	v_bfi_b32 v5, s30, v15, v5
	v_add_f32_e32 v5, v14, v5
	v_cvt_i32_f32_e32 v5, v5
	v_fma_f32 v14, -v16, v17, 1.0
	v_fmac_f32_e32 v17, v14, v17
	v_div_scale_f32 v14, vcc, v2, v4, v2
	v_mul_f32_e32 v15, v14, v17
	v_fma_f32 v18, -v16, v15, v14
	v_fmac_f32_e32 v15, v18, v17
	v_div_scale_f32 v18, s[12:13], v4, v4, v3
	v_rcp_f32_e32 v19, v18
	v_fma_f32 v14, -v16, v15, v14
	v_div_fmas_f32 v14, v14, v17, v15
	v_div_fixup_f32 v2, v14, v4, v2
	v_fma_f32 v15, -v18, v19, 1.0
	v_fmac_f32_e32 v19, v15, v19
	v_div_scale_f32 v15, vcc, v3, v4, v3
	v_mul_f32_e32 v16, v15, v19
	v_fma_f32 v17, -v18, v16, v15
	v_fmac_f32_e32 v16, v17, v19
	v_div_scale_f32 v17, s[12:13], v4, v4, v13
	v_rcp_f32_e32 v20, v17
	v_fma_f32 v15, -v18, v16, v15
	v_div_fmas_f32 v15, v15, v19, v16
	v_div_fixup_f32 v3, v15, v4, v3
	v_fma_f32 v16, -v17, v20, 1.0
	v_fmac_f32_e32 v20, v16, v20
	v_div_scale_f32 v16, vcc, v13, v4, v13
	v_mul_f32_e32 v18, v16, v20
	v_fma_f32 v19, -v17, v18, v16
	v_fmac_f32_e32 v18, v19, v20
	v_fma_f32 v16, -v17, v18, v16
	v_div_fmas_f32 v16, v16, v20, v18
	v_div_fixup_f32 v13, v16, v4, v13
	v_trunc_f32_e32 v16, v13
	v_sub_f32_e32 v17, v13, v16
	v_trunc_f32_e32 v14, v3
	v_cmp_ge_f32_e64 s[12:13], |v17|, 0.5
	v_sub_f32_e32 v15, v3, v14
	v_and_b32_e32 v5, 0xff, v5
	v_cndmask_b32_e64 v17, 0, 1.0, s[12:13]
	v_cmp_ge_f32_e64 s[12:13], |v15|, 0.5
	v_bfi_b32 v13, s30, v17, v13
	v_add_f32_e32 v13, v16, v13
	v_cndmask_b32_e64 v15, 0, 1.0, s[12:13]
	v_bfi_b32 v3, s30, v15, v3
	v_add_f32_e32 v3, v14, v3
	v_trunc_f32_e32 v14, v2
	v_sub_f32_e32 v15, v2, v14
	v_cmp_ge_f32_e64 s[12:13], |v15|, 0.5
	v_cvt_i32_f32_e32 v13, v13
	v_cvt_i32_f32_e32 v3, v3
	v_cndmask_b32_e64 v15, 0, 1.0, s[12:13]
	v_bfi_b32 v2, s30, v15, v2
	v_add_f32_e32 v2, v14, v2
	v_cvt_i32_f32_e32 v2, v2
	v_and_b32_e32 v13, 0xff, v13
	v_lshlrev_b32_e32 v13, 16, v13
	v_mov_b32_e32 v14, 8
	v_lshlrev_b32_sdwa v3, v14, v3 dst_sel:DWORD dst_unused:UNUSED_PAD src0_sel:DWORD src1_sel:BYTE_0
	v_lshl_or_b32 v2, v2, 24, v13
	v_or3_b32 v5, v2, v3, v5
.LBB28_10:
	s_or_b64 exec, exec, s[6:7]
	v_and_b32_e32 v2, 7, v173
	v_cmp_eq_u32_e64 s[6:7], 0, v2
	ds_write_b32 v7, v5
	s_and_saveexec_b64 s[12:13], s[6:7]
	s_cbranch_execz .LBB28_12
; %bb.11:
	s_waitcnt lgkmcnt(1)
	v_add_f32_e32 v5, v11, v12
	ds_write_b64 v6, v[4:5] offset:256
.LBB28_12:
	s_or_b64 exec, exec, s[12:13]
	s_waitcnt lgkmcnt(1)
	global_load_dwordx4 v[12:15], v[0:1], off offset:512
	s_waitcnt vmcnt(0)
	v_mov_b32_e32 v0, v15
	v_mov_b32_e32 v1, v13
	v_mul_f32_e32 v11, s28, v12
	v_pk_mul_f32 v[0:1], s[28:29], v[0:1]
	v_mul_f32_e32 v5, s28, v14
	v_max_f32_e64 v2, |v11|, |v1|
	v_max3_f32 v2, v2, |v5|, |v0|
	ds_bpermute_b32 v3, v9, v2
	v_fma_f32 v4, s28, v12, v1
	v_fmac_f32_e32 v4, s28, v14
	v_add_f32_e32 v4, v4, v0
	ds_bpermute_b32 v9, v9, v4
	s_waitcnt lgkmcnt(1)
	v_max_f32_e32 v3, v3, v3
	v_max_f32_e32 v2, v2, v3
	ds_bpermute_b32 v3, v8, v2
	s_mov_b32 s28, 0x42fe0000
	s_waitcnt lgkmcnt(1)
	v_add_f32_e32 v4, v4, v9
	ds_bpermute_b32 v8, v8, v4
	s_waitcnt lgkmcnt(1)
	v_max_f32_e32 v3, v3, v3
	v_max_f32_e32 v2, v2, v3
	ds_bpermute_b32 v9, v10, v2
	s_waitcnt lgkmcnt(1)
	v_add_f32_e32 v3, v4, v8
	s_waitcnt lgkmcnt(0)
	v_max_f32_e32 v4, v9, v9
	v_max_f32_e32 v2, v2, v4
	v_div_scale_f32 v8, s[12:13], s28, s28, v2
	v_rcp_f32_e32 v9, v8
	ds_bpermute_b32 v4, v10, v3
	v_div_scale_f32 v10, vcc, v2, s28, v2
	v_fma_f32 v12, -v8, v9, 1.0
	v_fmac_f32_e32 v9, v12, v9
	v_mul_f32_e32 v12, v10, v9
	v_fma_f32 v13, -v8, v12, v10
	v_fmac_f32_e32 v12, v13, v9
	v_fma_f32 v8, -v8, v12, v10
	v_div_fmas_f32 v8, v8, v9, v12
	v_div_fixup_f32 v2, v8, s28, v2
	v_cmp_neq_f32_e32 vcc, 0, v2
	v_mov_b32_e32 v8, 0
	s_and_saveexec_b64 s[12:13], vcc
	s_cbranch_execz .LBB28_14
; %bb.13:
	v_div_scale_f32 v8, s[28:29], v2, v2, v11
	v_rcp_f32_e32 v9, v8
	v_div_scale_f32 v10, vcc, v11, v2, v11
	s_brev_b32 s30, -2
	v_fma_f32 v12, -v8, v9, 1.0
	v_fmac_f32_e32 v9, v12, v9
	v_mul_f32_e32 v12, v10, v9
	v_fma_f32 v13, -v8, v12, v10
	v_fmac_f32_e32 v12, v13, v9
	v_fma_f32 v8, -v8, v12, v10
	v_div_fmas_f32 v8, v8, v9, v12
	v_div_fixup_f32 v8, v8, v2, v11
	v_trunc_f32_e32 v9, v8
	v_sub_f32_e32 v10, v8, v9
	v_cmp_ge_f32_e64 s[28:29], |v10|, 0.5
	s_nop 1
	v_cndmask_b32_e64 v10, 0, 1.0, s[28:29]
	v_div_scale_f32 v11, s[28:29], v2, v2, v0
	v_rcp_f32_e32 v12, v11
	v_bfi_b32 v8, s30, v10, v8
	v_add_f32_e32 v8, v9, v8
	v_cvt_i32_f32_e32 v8, v8
	v_fma_f32 v9, -v11, v12, 1.0
	v_fmac_f32_e32 v12, v9, v12
	v_div_scale_f32 v9, vcc, v0, v2, v0
	v_mul_f32_e32 v10, v9, v12
	v_fma_f32 v13, -v11, v10, v9
	v_fmac_f32_e32 v10, v13, v12
	v_div_scale_f32 v13, s[28:29], v2, v2, v1
	v_rcp_f32_e32 v14, v13
	v_fma_f32 v9, -v11, v10, v9
	v_div_fmas_f32 v9, v9, v12, v10
	v_div_fixup_f32 v0, v9, v2, v0
	v_fma_f32 v10, -v13, v14, 1.0
	v_fmac_f32_e32 v14, v10, v14
	v_div_scale_f32 v10, vcc, v1, v2, v1
	v_mul_f32_e32 v11, v10, v14
	v_fma_f32 v12, -v13, v11, v10
	v_fmac_f32_e32 v11, v12, v14
	v_div_scale_f32 v12, s[28:29], v2, v2, v5
	v_rcp_f32_e32 v15, v12
	v_fma_f32 v10, -v13, v11, v10
	v_div_fmas_f32 v10, v10, v14, v11
	v_div_fixup_f32 v1, v10, v2, v1
	v_fma_f32 v11, -v12, v15, 1.0
	v_fmac_f32_e32 v15, v11, v15
	v_div_scale_f32 v11, vcc, v5, v2, v5
	v_mul_f32_e32 v13, v11, v15
	v_fma_f32 v14, -v12, v13, v11
	v_fmac_f32_e32 v13, v14, v15
	v_fma_f32 v11, -v12, v13, v11
	v_div_fmas_f32 v11, v11, v15, v13
	v_div_fixup_f32 v5, v11, v2, v5
	v_trunc_f32_e32 v11, v5
	v_sub_f32_e32 v12, v5, v11
	v_trunc_f32_e32 v9, v1
	v_cmp_ge_f32_e64 s[28:29], |v12|, 0.5
	v_sub_f32_e32 v10, v1, v9
	s_nop 0
	v_cndmask_b32_e64 v12, 0, 1.0, s[28:29]
	v_cmp_ge_f32_e64 s[28:29], |v10|, 0.5
	v_bfi_b32 v5, s30, v12, v5
	v_add_f32_e32 v5, v11, v5
	v_cndmask_b32_e64 v10, 0, 1.0, s[28:29]
	v_bfi_b32 v1, s30, v10, v1
	v_add_f32_e32 v1, v9, v1
	v_trunc_f32_e32 v9, v0
	v_sub_f32_e32 v10, v0, v9
	v_cmp_ge_f32_e64 s[28:29], |v10|, 0.5
	v_cvt_i32_f32_e32 v5, v5
	v_cvt_i32_f32_e32 v1, v1
	v_cndmask_b32_e64 v10, 0, 1.0, s[28:29]
	v_bfi_b32 v0, s30, v10, v0
	v_add_f32_e32 v0, v9, v0
	v_cvt_i32_f32_e32 v0, v0
	v_and_b32_e32 v5, 0xff, v5
	v_lshlrev_b32_e32 v5, 16, v5
	v_mov_b32_e32 v9, 8
	v_lshlrev_b32_sdwa v1, v9, v1 dst_sel:DWORD dst_unused:UNUSED_PAD src0_sel:DWORD src1_sel:BYTE_0
	v_lshl_or_b32 v0, v0, 24, v5
	v_and_b32_e32 v5, 0xff, v8
	v_or3_b32 v8, v0, v1, v5
.LBB28_14:
	s_or_b64 exec, exec, s[12:13]
	ds_write_b32 v7, v8 offset:128
	s_and_saveexec_b64 s[12:13], s[6:7]
	s_cbranch_execz .LBB28_16
; %bb.15:
	s_waitcnt lgkmcnt(1)
	v_add_f32_e32 v3, v3, v4
	ds_write_b64 v6, v[2:3] offset:288
.LBB28_16:
	s_or_b64 exec, exec, s[12:13]
.LBB28_17:
	s_or_b64 exec, exec, s[8:9]
	v_and_b32_e32 v33, 3, v173
	v_lshlrev_b32_e32 v58, 2, v33
	s_waitcnt lgkmcnt(0)
	s_barrier
	ds_read2_b32 v[60:61], v58 offset1:4
	ds_read2_b32 v[62:63], v58 offset0:8 offset1:12
	ds_read_b128 v[0:3], v28 offset:256
	ds_read_b128 v[4:7], v28 offset:272
	;; [unrolled: 1-line block ×4, first 2 shown]
	ds_read2_b32 v[64:65], v58 offset0:16 offset1:20
	ds_read2_b32 v[66:67], v58 offset0:24 offset1:28
	;; [unrolled: 1-line block ×9, first 2 shown]
	ds_read_b128 v[16:19], v28 offset:768
	ds_read_b128 v[20:23], v28 offset:784
	ds_read2_b32 v[82:83], v58 offset0:152 offset1:156
	ds_read2_b32 v[84:85], v58 offset0:160 offset1:164
	;; [unrolled: 1-line block ×4, first 2 shown]
	ds_read_b128 v[24:27], v28 offset:800
	ds_read_b128 v[28:31], v28 offset:816
	ds_read2_b32 v[90:91], v58 offset0:184 offset1:188
	s_cmp_eq_u64 s[22:23], 0
	s_mov_b32 s37, s46
	s_waitcnt lgkmcnt(0)
	s_barrier
	s_cbranch_scc1 .LBB28_19
; %bb.18:
	s_load_dword s6, s[2:3], 0xd0
	s_mov_b32 s7, 0
	s_waitcnt lgkmcnt(0)
	s_mul_i32 s6, s6, s48
	s_add_i32 s6, s6, s4
	s_lshl_b64 s[6:7], s[6:7], 2
	s_add_u32 s6, s22, s6
	s_addc_u32 s7, s23, s7
	s_load_dword s37, s[6:7], 0x0
.LBB28_19:
	v_add_u32_e32 v195, 0xa00, v32
	v_lshlrev_b32_e32 v32, 5, v175
	v_add_u32_e32 v191, v32, v173
	s_lshl_b32 s22, s5, 7
	s_mov_b32 s39, 0
	s_waitcnt lgkmcnt(0)
	s_cmp_ge_i32 s22, s37
	v_mbcnt_lo_u32_b32 v196, -1, 0
	v_lshlrev_b32_e32 v193, 1, v191
	s_cbranch_scc1 .LBB28_39
; %bb.20:
	s_sub_i32 s4, 0, s40
	s_sub_i32 s6, 0, s10
	s_load_dwordx2 s[12:13], s[2:3], 0x8c
	s_load_dwordx4 s[28:31], s[2:3], 0x98
	s_mul_i32 s4, s4, s43
	s_mul_i32 s6, s6, s42
	s_mul_hi_u32 s4, s43, s4
	s_mul_hi_u32 s6, s42, s6
	s_add_i32 s43, s43, s4
	s_abs_i32 s4, s48
	s_add_i32 s42, s42, s6
	s_abs_i32 s8, s36
	s_mul_hi_u32 s23, s4, s42
	s_ashr_i32 s42, s48, 31
	s_mul_hi_u32 s9, s8, s43
	s_waitcnt lgkmcnt(0)
	s_mul_hi_u32 s43, s28, s48
	s_mul_i32 s44, s28, s42
	s_ashr_i32 s38, s36, 31
	s_ashr_i32 s41, s41, 31
	s_add_i32 s43, s43, s44
	s_mul_i32 s29, s29, s48
	s_add_i32 s43, s43, s29
	s_xor_b32 s29, s38, s41
	s_mul_i32 s38, s9, s40
	s_sub_i32 s8, s8, s38
	s_add_i32 s38, s9, 1
	s_sub_i32 s41, s8, s40
	s_cmp_ge_u32 s8, s40
	s_cselect_b32 s9, s38, s9
	s_cselect_b32 s8, s41, s8
	s_add_i32 s38, s9, 1
	s_cmp_ge_u32 s8, s40
	s_cselect_b32 s8, s38, s9
	s_xor_b32 s8, s8, s29
	s_load_dwordx2 s[6:7], s[2:3], 0xa8
	s_sub_i32 s29, s8, s29
	s_mul_i32 s8, s29, s13
	s_mul_i32 s28, s28, s48
	s_ashr_i32 s9, s8, 31
	s_add_u32 s13, s14, s28
	s_addc_u32 s14, s15, s43
	s_add_u32 s13, s13, s8
	s_waitcnt lgkmcnt(0)
	s_mul_hi_u32 s28, s6, s48
	s_mul_i32 s38, s6, s42
	s_addc_u32 s14, s14, s9
	s_add_i32 s28, s28, s38
	s_mul_i32 s7, s7, s48
	s_mul_i32 s29, s29, s31
	s_add_i32 s28, s28, s7
	s_mul_i32 s6, s6, s48
	s_ashr_i32 s7, s29, 31
	s_add_u32 s6, s16, s6
	s_addc_u32 s16, s17, s28
	s_add_u32 s17, s6, s29
	s_mul_i32 s23, s23, s10
	s_addc_u32 s16, s16, s7
	s_sub_i32 s4, s4, s23
	s_sub_i32 s6, s4, s10
	s_cmp_ge_u32 s4, s10
	s_cselect_b32 s4, s6, s4
	s_sub_i32 s6, s4, s10
	s_cmp_ge_u32 s4, s10
	s_load_dwordx2 s[8:9], s[2:3], 0xc8
	s_load_dword s15, s[2:3], 0xd4
	s_cselect_b32 s4, s6, s4
	s_xor_b32 s4, s4, s42
	v_mul_lo_u32 v104, v32, s30
	s_sub_i32 s4, s4, s42
	v_add_u32_e32 v110, s30, v104
	s_ashr_i32 s6, s4, 31
	v_add_u32_e32 v112, s30, v110
	s_waitcnt lgkmcnt(0)
	s_mul_i32 s6, s8, s6
	s_mul_hi_u32 s7, s8, s4
	v_add_u32_e32 v114, s30, v112
	s_add_i32 s6, s7, s6
	s_mul_i32 s7, s9, s4
	v_add_u32_e32 v116, s30, v114
	s_add_i32 s6, s6, s7
	s_mul_i32 s4, s8, s4
	v_add_u32_e32 v118, s30, v116
	s_add_u32 s4, s18, s4
	s_mul_i32 s7, s11, s33
	v_add_u32_e32 v120, s30, v118
	s_addc_u32 s6, s19, s6
	s_ashr_i32 s8, s7, 31
	v_add_u32_e32 v122, s30, v120
	s_add_u32 s4, s4, s7
	s_mov_b32 s23, s39
	v_add_u32_e32 v124, s30, v122
	s_addc_u32 s8, s6, s8
	s_lshl_b64 s[6:7], s[22:23], 1
	v_add_u32_e32 v126, s30, v124
	s_add_u32 s28, s4, s6
	v_add_u32_e32 v128, s30, v126
	s_addc_u32 s29, s8, s7
	s_mul_i32 s4, s30, s22
	v_add_u32_e32 v130, s30, v128
	s_add_u32 s40, s17, s4
	v_add_u32_e32 v132, s30, v130
	s_addc_u32 s41, s16, 0
	s_mul_i32 s4, s12, s22
	v_and_b32_e32 v34, 0x7c, v173
	v_add_u32_e32 v134, s30, v132
	s_add_u32 s42, s13, s4
	v_add_u32_e32 v92, v32, v34
	v_mbcnt_hi_u32_b32 v34, -1, v196
	v_add_u32_e32 v136, s30, v134
	s_addc_u32 s43, s14, 0
	v_and_b32_e32 v35, 0x7c, v34
	v_add_u32_e32 v138, s30, v136
	v_add_u32_e32 v35, 4, v35
	v_xor_b32_e32 v36, 2, v34
	s_cmp_lg_u64 s[18:19], 0
	v_add_u32_e32 v140, s30, v138
	v_cmp_lt_i32_e32 vcc, v36, v35
	s_cselect_b64 s[6:7], -1, 0
	s_lshl_b32 s38, s15, 7
	v_add_u32_e32 v142, s30, v140
	v_cndmask_b32_e32 v36, v34, v36, vcc
	s_cmp_lt_i32 s33, s34
	v_add_u32_e32 v144, s30, v142
	v_lshlrev_b32_e32 v197, 2, v36
	v_xor_b32_e32 v36, 1, v34
	s_cselect_b64 s[8:9], -1, 0
	v_add_u32_e32 v146, s30, v144
	v_cmp_lt_i32_e32 vcc, v36, v35
	s_and_b64 s[18:19], s[6:7], s[8:9]
	s_or_b32 s8, s33, 1
	v_add_u32_e32 v148, s30, v146
	v_cndmask_b32_e32 v35, v34, v36, vcc
	s_cmp_lt_i32 s8, s34
	v_add_u32_e32 v150, s30, v148
	v_lshlrev_b32_e32 v198, 2, v35
	v_and_b32_e32 v35, 0x60, v34
	s_cselect_b64 s[8:9], -1, 0
	v_add_u32_e32 v152, s30, v150
	v_add_u32_e32 v35, 32, v35
	v_cmp_eq_u32_e64 s[16:17], 0, v33
	s_and_b64 s[44:45], s[6:7], s[8:9]
	v_cmp_eq_u32_e64 s[6:7], 1, v33
	v_cmp_eq_u32_e64 s[8:9], 2, v33
	;; [unrolled: 1-line block ×3, first 2 shown]
	v_xor_b32_e32 v33, 4, v34
	v_add_u32_e32 v154, s30, v152
	v_cmp_lt_i32_e32 vcc, v33, v35
	v_add_u32_e32 v156, s30, v154
	v_add_u32_e32 v158, s30, v156
	v_cndmask_b32_e32 v33, v34, v33, vcc
	v_lshlrev_b32_e32 v199, 2, v33
	v_xor_b32_e32 v33, 8, v34
	v_add_u32_e32 v160, s30, v158
	v_cmp_lt_i32_e32 vcc, v33, v35
	v_add_u32_e32 v162, s30, v160
	v_mul_lo_u32 v94, v92, s12
	v_cndmask_b32_e32 v33, v34, v33, vcc
	v_add_u32_e32 v164, s30, v162
	v_add_u32_e32 v98, s12, v94
	v_lshlrev_b32_e32 v200, 2, v33
	v_xor_b32_e32 v33, 16, v34
	v_add_u32_e32 v166, s30, v164
	v_mov_b32_e32 v59, 0
	v_add_u32_e32 v100, s12, v98
	v_cmp_lt_i32_e32 vcc, v33, v35
	v_add_u32_e32 v168, s30, v166
	v_mov_b32_e32 v93, v59
	v_add_u32_e32 v96, s46, v92
	v_add_u32_e32 v102, s12, v100
	v_cndmask_b32_e32 v33, v34, v33, vcc
	v_lshlrev_b32_e32 v202, 1, v32
	v_add_u32_e32 v32, 0x80, v192
	v_add_u32_e32 v170, s30, v168
	s_ashr_i32 s47, s46, 31
	v_and_b32_e32 v204, 28, v192
	s_mul_i32 s4, s38, s12
	s_mul_i32 s23, s38, s30
	v_ashrrev_i32_e32 v95, 31, v94
	v_ashrrev_i32_e32 v97, 31, v96
	;; [unrolled: 1-line block ×5, first 2 shown]
	v_lshlrev_b32_e32 v201, 2, v33
	v_ashrrev_i32_e32 v105, 31, v104
	v_and_b32_e32 v106, 12, v192
	v_mov_b32_e32 v107, v59
	v_and_b32_e32 v108, 12, v32
	v_mov_b32_e32 v109, v59
	v_ashrrev_i32_e32 v111, 31, v110
	v_ashrrev_i32_e32 v113, 31, v112
	;; [unrolled: 1-line block ×31, first 2 shown]
	s_movk_i32 s30, 0x1000
	s_mov_b32 s31, 0x3fb8aa3b
	s_mov_b32 s49, 0xc2ce8ed0
	;; [unrolled: 1-line block ×4, first 2 shown]
	v_mov_b32_e32 v56, v59
	v_mov_b32_e32 v57, v59
	;; [unrolled: 1-line block ×4, first 2 shown]
	v_or_b32_e32 v203, 16, v58
	v_and_b32_e32 v205, 4, v173
	v_or_b32_e32 v206, 1, v204
	v_or_b32_e32 v207, 2, v204
	;; [unrolled: 1-line block ×3, first 2 shown]
	v_lshrrev_b32_e32 v172, 5, v32
	v_mov_b32_e32 v37, 0xfeffffff
	v_mov_b32_e32 v209, 0x7f800000
	;; [unrolled: 1-line block ×4, first 2 shown]
	v_bfe_u32 v174, v173, 3, 27
	v_lshl_add_u64 v[176:177], s[46:47], 0, v[92:93]
.LBB28_21:                              ; =>This Inner Loop Header: Depth=1
	v_lshl_add_u64 v[32:33], s[42:43], 0, v[94:95]
	global_load_dwordx2 v[34:35], v[32:33], off
	global_load_dwordx2 v[44:45], v[32:33], off offset:24
	global_load_dwordx2 v[46:47], v[32:33], off offset:48
	v_lshl_add_u64 v[38:39], v[32:33], 0, v[58:59]
	global_load_dword v40, v[38:39], off offset:8
	global_load_dword v48, v[38:39], off offset:32
	;; [unrolled: 1-line block ×3, first 2 shown]
	global_load_dwordx2 v[52:53], v[32:33], off offset:72
	global_load_dwordx2 v[180:181], v[32:33], off offset:96
	;; [unrolled: 1-line block ×3, first 2 shown]
	global_load_dword v51, v[38:39], off offset:80
	global_load_dword v54, v[38:39], off offset:104
	;; [unrolled: 1-line block ×4, first 2 shown]
	s_nop 0
	global_load_dword v38, v[38:39], off offset:176
	s_and_b64 vcc, exec, s[18:19]
	s_waitcnt vmcnt(9)
	v_and_b32_e32 v213, 0xf0f0f0f, v48
	s_waitcnt vmcnt(8)
	v_and_b32_e32 v220, 0xf0f0f0f, v49
	v_lshrrev_b32_e32 v49, 4, v49
	v_and_b32_e32 v224, 0xf0f0f0f, v49
	v_lshrrev_b32_e32 v48, 4, v48
	v_ashrrev_i32_e32 v55, v203, v35
	v_ashrrev_i32_e32 v50, v58, v35
	v_cvt_f32_f16_e32 v43, v34
	v_cvt_f32_f16_sdwa v42, v34 dst_sel:DWORD dst_unused:UNUSED_PAD src0_sel:WORD_1
	v_cvt_f32_f16_e32 v35, v46
	v_cvt_f32_f16_sdwa v34, v46 dst_sel:DWORD dst_unused:UNUSED_PAD src0_sel:WORD_1
	v_and_b32_e32 v46, 0xf0f0f0f, v40
	v_lshrrev_b32_e32 v40, 4, v40
	v_lshlrev_b32_e32 v188, 4, v55
	v_lshlrev_b32_e32 v189, 11, v55
	;; [unrolled: 1-line block ×4, first 2 shown]
	v_and_b32_e32 v40, 0xf0f0f0f, v40
	v_and_b32_e32 v212, 0x100000, v212
	;; [unrolled: 1-line block ×5, first 2 shown]
	v_or3_b32 v40, v55, v40, v212
	v_or3_b32 v55, v40, v188, v189
	global_load_dwordx2 v[188:189], v[32:33], off offset:144
	v_ashrrev_i32_e32 v93, v58, v45
	v_lshlrev_b32_e32 v214, 4, v93
	v_lshlrev_b32_e32 v215, 11, v93
	;; [unrolled: 1-line block ×4, first 2 shown]
	v_and_b32_e32 v216, 0x100000, v216
	v_and_b32_e32 v93, 0x10000000, v93
	v_or3_b32 v49, v93, v213, v216
	global_load_dwordx2 v[212:213], v[32:33], off offset:168
	v_cvt_f32_f16_e32 v41, v44
	v_cvt_f32_f16_sdwa v39, v44 dst_sel:DWORD dst_unused:UNUSED_PAD src0_sel:WORD_1
	v_ashrrev_i32_e32 v44, v203, v45
	v_ashrrev_i32_e32 v45, v58, v47
	v_lshlrev_b32_e32 v182, 4, v50
	v_lshlrev_b32_e32 v183, 11, v50
	;; [unrolled: 1-line block ×12, first 2 shown]
	v_and_b32_e32 v187, 0x100000, v187
	v_and_b32_e32 v50, 0x10000000, v50
	;; [unrolled: 1-line block ×15, first 2 shown]
	v_or3_b32 v46, v50, v46, v187
	v_or3_b32 v44, v44, v48, v219
	;; [unrolled: 1-line block ×3, first 2 shown]
	v_ashrrev_i32_e32 v40, v203, v47
	v_or3_b32 v183, v46, v182, v183
	v_or3_b32 v50, v49, v214, v215
	;; [unrolled: 1-line block ×4, first 2 shown]
	v_lshlrev_b32_e32 v45, 4, v40
	v_lshlrev_b32_e32 v46, 11, v40
	;; [unrolled: 1-line block ×4, first 2 shown]
	v_and_b32_e32 v47, 0x100000, v47
	v_and_b32_e32 v40, 0x10000000, v40
	;; [unrolled: 1-line block ×4, first 2 shown]
	v_or3_b32 v40, v40, v224, v47
	v_or3_b32 v47, v40, v45, v46
	s_waitcnt vmcnt(9)
	v_ashrrev_i32_e32 v45, v58, v53
	v_lshlrev_b32_e32 v46, 4, v45
	v_lshlrev_b32_e32 v48, 11, v45
	;; [unrolled: 1-line block ×4, first 2 shown]
	s_waitcnt vmcnt(6)
	v_and_b32_e32 v40, 0xf0f0f0f, v51
	v_and_b32_e32 v93, 0x100000, v93
	;; [unrolled: 1-line block ×5, first 2 shown]
	v_or3_b32 v40, v45, v40, v93
	v_or3_b32 v48, v40, v46, v48
	v_lshrrev_b32_e32 v40, 4, v51
	v_ashrrev_i32_e32 v51, v203, v53
	v_cvt_f32_f16_e32 v45, v52
	v_cvt_f32_f16_sdwa v46, v52 dst_sel:DWORD dst_unused:UNUSED_PAD src0_sel:WORD_1
	v_lshlrev_b32_e32 v52, 4, v51
	v_lshlrev_b32_e32 v53, 11, v51
	;; [unrolled: 1-line block ×4, first 2 shown]
	v_and_b32_e32 v40, 0xf0f0f0f, v40
	v_and_b32_e32 v93, 0x100000, v93
	;; [unrolled: 1-line block ×5, first 2 shown]
	v_or3_b32 v40, v51, v40, v93
	v_ashrrev_i32_e32 v32, v58, v181
	v_or3_b32 v51, v40, v52, v53
	v_lshlrev_b32_e32 v33, 4, v32
	v_lshlrev_b32_e32 v52, 11, v32
	;; [unrolled: 1-line block ×4, first 2 shown]
	s_waitcnt vmcnt(5)
	v_and_b32_e32 v40, 0xf0f0f0f, v54
	v_and_b32_e32 v53, 0x100000, v53
	v_and_b32_e32 v32, 0x10000000, v32
	v_and_b32_e32 v33, 16, v33
	v_and_b32_e32 v52, 0x1000, v52
	v_or3_b32 v32, v32, v40, v53
	v_ashrrev_i32_e32 v53, v203, v181
	v_or3_b32 v52, v32, v33, v52
	v_cvt_f32_f16_e32 v32, v180
	v_cvt_f32_f16_sdwa v33, v180 dst_sel:DWORD dst_unused:UNUSED_PAD src0_sel:WORD_1
	v_lshrrev_b32_e32 v40, 4, v54
	v_lshlrev_b32_e32 v54, 4, v53
	v_lshlrev_b32_e32 v93, 11, v53
	;; [unrolled: 1-line block ×4, first 2 shown]
	v_and_b32_e32 v40, 0xf0f0f0f, v40
	v_and_b32_e32 v180, 0x100000, v180
	;; [unrolled: 1-line block ×5, first 2 shown]
	v_or3_b32 v40, v53, v40, v180
	v_ashrrev_i32_e32 v53, v58, v185
	v_or3_b32 v182, v40, v54, v93
	v_lshlrev_b32_e32 v54, 4, v53
	v_lshlrev_b32_e32 v93, 11, v53
	v_lshlrev_b32_e32 v180, 18, v53
	v_lshlrev_b32_e32 v53, 25, v53
	s_waitcnt vmcnt(4)
	v_and_b32_e32 v40, 0xf0f0f0f, v186
	v_and_b32_e32 v180, 0x100000, v180
	v_and_b32_e32 v53, 0x10000000, v53
	v_and_b32_e32 v54, 16, v54
	v_and_b32_e32 v93, 0x1000, v93
	v_or3_b32 v40, v53, v40, v180
	v_ashrrev_i32_e32 v180, v203, v185
	v_or3_b32 v93, v40, v54, v93
	v_cvt_f32_f16_e32 v53, v184
	v_cvt_f32_f16_sdwa v54, v184 dst_sel:DWORD dst_unused:UNUSED_PAD src0_sel:WORD_1
	v_lshrrev_b32_e32 v40, 4, v186
	v_lshlrev_b32_e32 v181, 4, v180
	v_lshlrev_b32_e32 v184, 11, v180
	;; [unrolled: 1-line block ×4, first 2 shown]
	v_and_b32_e32 v40, 0xf0f0f0f, v40
	v_and_b32_e32 v185, 0x100000, v185
	;; [unrolled: 1-line block ×5, first 2 shown]
	v_or3_b32 v40, v180, v40, v185
	s_waitcnt vmcnt(1)
	v_ashrrev_i32_e32 v180, v58, v189
	v_or3_b32 v187, v40, v181, v184
	v_lshlrev_b32_e32 v181, 4, v180
	v_lshlrev_b32_e32 v184, 11, v180
	;; [unrolled: 1-line block ×4, first 2 shown]
	v_and_b32_e32 v40, 0xf0f0f0f, v211
	v_and_b32_e32 v185, 0x100000, v185
	;; [unrolled: 1-line block ×5, first 2 shown]
	v_or3_b32 v40, v180, v40, v185
	v_ashrrev_i32_e32 v185, v203, v189
	v_or3_b32 v184, v40, v181, v184
	v_cvt_f32_f16_e32 v180, v188
	v_cvt_f32_f16_sdwa v181, v188 dst_sel:DWORD dst_unused:UNUSED_PAD src0_sel:WORD_1
	v_lshrrev_b32_e32 v40, 4, v211
	v_lshlrev_b32_e32 v186, 4, v185
	v_lshlrev_b32_e32 v188, 11, v185
	;; [unrolled: 1-line block ×4, first 2 shown]
	v_and_b32_e32 v40, 0xf0f0f0f, v40
	v_and_b32_e32 v189, 0x100000, v189
	;; [unrolled: 1-line block ×5, first 2 shown]
	v_or3_b32 v40, v185, v40, v189
	s_waitcnt vmcnt(0)
	v_ashrrev_i32_e32 v185, v58, v213
	v_or3_b32 v189, v40, v186, v188
	v_lshlrev_b32_e32 v186, 4, v185
	v_lshlrev_b32_e32 v188, 11, v185
	;; [unrolled: 1-line block ×4, first 2 shown]
	v_and_b32_e32 v40, 0xf0f0f0f, v38
	v_and_b32_e32 v211, 0x100000, v211
	;; [unrolled: 1-line block ×5, first 2 shown]
	v_or3_b32 v40, v185, v40, v211
	v_or3_b32 v188, v40, v186, v188
	v_ashrrev_i32_e32 v40, v203, v213
	v_cvt_f32_f16_e32 v185, v212
	v_cvt_f32_f16_sdwa v186, v212 dst_sel:DWORD dst_unused:UNUSED_PAD src0_sel:WORD_1
	v_lshrrev_b32_e32 v38, 4, v38
	v_lshlrev_b32_e32 v211, 4, v40
	v_lshlrev_b32_e32 v212, 11, v40
	;; [unrolled: 1-line block ×4, first 2 shown]
	v_and_b32_e32 v38, 0xf0f0f0f, v38
	v_and_b32_e32 v213, 0x100000, v213
	;; [unrolled: 1-line block ×5, first 2 shown]
	v_or3_b32 v38, v40, v38, v213
	v_or3_b32 v211, v38, v211, v212
	v_mov_b32_e32 v38, 0
	v_mov_b32_e32 v213, 0
	v_dot4c_i32_i8_e32 v38, v183, v60
	v_dot4c_i32_i8_e32 v213, v55, v61
	v_mul_f32_e32 v212, v1, v42
	v_mul_f32_e32 v40, v0, v43
	v_cvt_f32_i32_e32 v38, v38
	v_cvt_f32_i32_e32 v213, v213
	v_mul_f32_e32 v212, 0x3e000000, v212
	v_mov_b32_e32 v214, 0
	v_fma_f32 v38, v40, v38, v212
	v_fmac_f32_e32 v212, v40, v213
	v_mov_b32_e32 v40, 0
	v_dot4c_i32_i8_e32 v40, v50, v62
	v_dot4c_i32_i8_e32 v214, v49, v63
	v_add_f32_e32 v38, 0, v38
	v_mul_f32_e32 v213, v3, v39
	v_cvt_f32_i32_e32 v40, v40
	v_cvt_f32_i32_e32 v214, v214
	v_add_f32_e32 v38, v212, v38
	v_mul_f32_e32 v212, v2, v41
	v_mul_f32_e32 v213, 0x3e000000, v213
	v_fma_f32 v40, v212, v40, v213
	v_add_f32_e32 v38, v38, v40
	v_mov_b32_e32 v40, 0
	v_fmac_f32_e32 v213, v212, v214
	v_dot4c_i32_i8_e32 v40, v44, v64
	v_mov_b32_e32 v214, 0
	v_dot4c_i32_i8_e32 v214, v47, v65
	v_add_f32_e32 v38, v213, v38
	v_cvt_f32_i32_e32 v40, v40
	v_mul_f32_e32 v213, v5, v34
	v_cvt_f32_i32_e32 v214, v214
	v_mul_f32_e32 v212, v4, v35
	v_mul_f32_e32 v213, 0x3e000000, v213
	v_fma_f32 v40, v212, v40, v213
	v_add_f32_e32 v38, v38, v40
	v_fmac_f32_e32 v213, v212, v214
	v_add_f32_e32 v214, v213, v38
	v_mov_b32_e32 v38, 0
	v_mov_b32_e32 v40, 0
	v_dot4c_i32_i8_e32 v38, v48, v66
	v_dot4c_i32_i8_e32 v40, v51, v67
	s_nop 1
	v_cvt_f32_i32_e32 v213, v38
	v_cvt_f32_i32_e32 v212, v40
	v_mul_f32_e32 v40, v7, v46
	v_mul_f32_e32 v38, v6, v45
	v_mul_f32_e32 v40, 0x3e000000, v40
	v_pk_fma_f32 v[212:213], v[38:39], v[212:213], v[40:41] op_sel_hi:[0,1,0]
	v_add_f32_e32 v38, v214, v213
	v_add_f32_e32 v214, v212, v38
	v_mov_b32_e32 v38, 0
	v_mov_b32_e32 v40, 0
	v_dot4c_i32_i8_e32 v38, v52, v68
	v_dot4c_i32_i8_e32 v40, v182, v69
	s_nop 1
	v_cvt_f32_i32_e32 v213, v38
	v_cvt_f32_i32_e32 v212, v40
	v_mul_f32_e32 v40, v9, v33
	v_mul_f32_e32 v38, v8, v32
	v_mul_f32_e32 v40, 0x3e000000, v40
	v_pk_fma_f32 v[212:213], v[38:39], v[212:213], v[40:41] op_sel_hi:[0,1,0]
	v_add_f32_e32 v38, v214, v213
	;; [unrolled: 13-line block ×5, first 2 shown]
	v_add_f32_e32 v38, v212, v38
	ds_bpermute_b32 v40, v197, v38
	s_waitcnt lgkmcnt(0)
	v_add_f32_e32 v38, v38, v40
	ds_bpermute_b32 v40, v198, v38
	s_waitcnt lgkmcnt(0)
	v_add_f32_e32 v38, v38, v40
	v_lshlrev_b32_e32 v40, 1, v92
	s_cbranch_vccz .LBB28_23
; %bb.22:                               ;   in Loop: Header=BB28_21 Depth=1
	global_load_ushort v212, v40, s[28:29]
	s_waitcnt vmcnt(0)
	v_fma_mix_f32 v38, v194, v212, v38 op_sel_hi:[0,1,0]
.LBB28_23:                              ;   in Loop: Header=BB28_21 Depth=1
	v_mov_b32_e32 v212, 0
	v_dot4c_i32_i8_e32 v212, v183, v76
	v_mul_f32_e32 v42, v17, v42
	v_mul_f32_e32 v43, v16, v43
	;; [unrolled: 1-line block ×3, first 2 shown]
	v_cvt_f32_i32_e32 v183, v212
	v_mov_b32_e32 v212, 0
	v_dot4c_i32_i8_e32 v212, v55, v77
	v_mul_f32_e32 v39, v19, v39
	v_fma_f32 v183, v43, v183, v42
	v_add_f32_e32 v183, 0, v183
	v_cvt_f32_i32_e32 v55, v212
	v_mul_f32_e32 v41, v18, v41
	v_mul_f32_e32 v39, 0x3e000000, v39
	v_mul_f32_e32 v34, v21, v34
	v_fmac_f32_e32 v42, v43, v55
	v_mov_b32_e32 v43, 0
	v_dot4c_i32_i8_e32 v43, v50, v78
	v_mov_b32_e32 v50, 0
	v_dot4c_i32_i8_e32 v50, v49, v79
	v_add_f32_e32 v42, v42, v183
	v_cvt_f32_i32_e32 v43, v43
	v_mul_f32_e32 v35, v20, v35
	v_cvt_f32_i32_e32 v49, v50
	v_mul_f32_e32 v34, 0x3e000000, v34
	v_fma_f32 v43, v41, v43, v39
	v_add_f32_e32 v42, v42, v43
	v_fmac_f32_e32 v39, v41, v49
	v_mov_b32_e32 v41, 0
	v_add_f32_e32 v39, v39, v42
	v_dot4c_i32_i8_e32 v41, v44, v80
	v_mov_b32_e32 v42, 0
	v_dot4c_i32_i8_e32 v42, v47, v81
	v_mul_f32_e32 v33, v25, v33
	v_cvt_f32_i32_e32 v41, v41
	v_mul_f32_e32 v32, v24, v32
	v_cvt_f32_i32_e32 v42, v42
	s_andn2_b64 vcc, exec, s[44:45]
	v_fma_f32 v41, v35, v41, v34
	v_add_f32_e32 v39, v39, v41
	v_fmac_f32_e32 v34, v35, v42
	v_add_f32_e32 v39, v34, v39
	v_mov_b32_e32 v34, 0
	v_mov_b32_e32 v41, 0
	v_dot4c_i32_i8_e32 v34, v48, v82
	v_dot4c_i32_i8_e32 v41, v51, v83
	v_mul_f32_e32 v42, v22, v45
	s_nop 0
	v_cvt_f32_i32_e32 v35, v34
	v_cvt_f32_i32_e32 v34, v41
	v_mul_f32_e32 v41, v23, v46
	v_mul_f32_e32 v44, 0x3e000000, v41
	v_mov_b32_e32 v41, 0
	v_pk_fma_f32 v[34:35], v[42:43], v[34:35], v[44:45] op_sel_hi:[0,1,0]
	v_add_f32_e32 v35, v39, v35
	v_add_f32_e32 v39, v34, v35
	v_mov_b32_e32 v34, 0
	v_dot4c_i32_i8_e32 v34, v52, v84
	v_dot4c_i32_i8_e32 v41, v182, v85
	v_mul_f32_e32 v42, 0x3e000000, v33
	s_nop 0
	v_cvt_f32_i32_e32 v35, v34
	v_cvt_f32_i32_e32 v34, v41
	v_pk_fma_f32 v[32:33], v[32:33], v[34:35], v[42:43] op_sel_hi:[0,1,0]
	v_add_f32_e32 v33, v39, v33
	v_add_f32_e32 v35, v32, v33
	v_mov_b32_e32 v32, 0
	v_mov_b32_e32 v34, 0
	v_dot4c_i32_i8_e32 v32, v93, v86
	v_dot4c_i32_i8_e32 v34, v187, v87
	v_mul_f32_e32 v39, v27, v54
	v_mul_f32_e32 v42, 0x3e000000, v39
	v_cvt_f32_i32_e32 v33, v32
	v_cvt_f32_i32_e32 v32, v34
	v_mul_f32_e32 v34, v26, v53
	v_mul_f32_e32 v39, v29, v181
	v_pk_fma_f32 v[32:33], v[34:35], v[32:33], v[42:43] op_sel_hi:[0,1,0]
	v_add_f32_e32 v33, v35, v33
	v_add_f32_e32 v35, v32, v33
	v_mov_b32_e32 v32, 0
	v_mov_b32_e32 v34, 0
	v_dot4c_i32_i8_e32 v32, v184, v88
	v_dot4c_i32_i8_e32 v34, v189, v89
	v_mul_f32_e32 v42, 0x3e000000, v39
	v_mul_f32_e32 v39, v31, v186
	v_cvt_f32_i32_e32 v33, v32
	v_cvt_f32_i32_e32 v32, v34
	v_mul_f32_e32 v34, v28, v180
	v_pk_fma_f32 v[32:33], v[34:35], v[32:33], v[42:43] op_sel_hi:[0,1,0]
	v_add_f32_e32 v33, v35, v33
	v_add_f32_e32 v35, v32, v33
	v_mov_b32_e32 v32, 0
	v_mov_b32_e32 v34, 0
	v_dot4c_i32_i8_e32 v32, v188, v90
	v_dot4c_i32_i8_e32 v34, v211, v91
	v_mul_f32_e32 v42, 0x3e000000, v39
	s_nop 0
	v_cvt_f32_i32_e32 v33, v32
	v_cvt_f32_i32_e32 v32, v34
	v_mul_f32_e32 v34, v30, v185
	v_pk_fma_f32 v[32:33], v[34:35], v[32:33], v[42:43] op_sel_hi:[0,1,0]
	v_add_f32_e32 v33, v35, v33
	v_add_f32_e32 v32, v32, v33
	ds_bpermute_b32 v33, v197, v32
	v_cndmask_b32_e64 v34, 0, 1, s[44:45]
	v_cmp_ne_u32_e64 s[12:13], 1, v34
	s_waitcnt lgkmcnt(0)
	v_add_f32_e32 v32, v32, v33
	ds_bpermute_b32 v33, v198, v32
	s_waitcnt lgkmcnt(0)
	v_add_f32_e32 v39, v32, v33
	s_cbranch_vccnz .LBB28_25
; %bb.24:                               ;   in Loop: Header=BB28_21 Depth=1
	v_lshl_add_u64 v[32:33], v[96:97], 1, s[28:29]
	global_load_ushort v32, v[32:33], off
	s_waitcnt vmcnt(0)
	v_fma_mix_f32 v39, v194, v32, v39 op_sel_hi:[0,1,0]
.LBB28_25:                              ;   in Loop: Header=BB28_21 Depth=1
	v_lshl_add_u64 v[32:33], s[42:43], 0, v[98:99]
	global_load_dwordx2 v[34:35], v[32:33], off
	global_load_dwordx2 v[46:47], v[32:33], off offset:24
	global_load_dwordx2 v[48:49], v[32:33], off offset:48
	v_lshl_add_u64 v[42:43], v[32:33], 0, v[58:59]
	global_load_dword v41, v[42:43], off offset:8
	global_load_dword v50, v[42:43], off offset:32
	;; [unrolled: 1-line block ×3, first 2 shown]
	global_load_dwordx2 v[54:55], v[32:33], off offset:72
	global_load_dwordx2 v[182:183], v[32:33], off offset:96
	global_load_dwordx2 v[186:187], v[32:33], off offset:120
	global_load_dword v53, v[42:43], off offset:80
	global_load_dword v93, v[42:43], off offset:104
	;; [unrolled: 1-line block ×5, first 2 shown]
	s_andn2_b64 vcc, exec, s[18:19]
	s_waitcnt vmcnt(9)
	v_and_b32_e32 v215, 0xf0f0f0f, v50
	s_waitcnt vmcnt(8)
	v_and_b32_e32 v223, 0xf0f0f0f, v51
	v_lshrrev_b32_e32 v51, 4, v51
	v_and_b32_e32 v227, 0xf0f0f0f, v51
	v_lshrrev_b32_e32 v50, 4, v50
	v_ashrrev_i32_e32 v180, v203, v35
	v_ashrrev_i32_e32 v52, v58, v35
	v_cvt_f32_f16_e32 v45, v34
	v_cvt_f32_f16_sdwa v44, v34 dst_sel:DWORD dst_unused:UNUSED_PAD src0_sel:WORD_1
	v_cvt_f32_f16_e32 v35, v48
	v_cvt_f32_f16_sdwa v34, v48 dst_sel:DWORD dst_unused:UNUSED_PAD src0_sel:WORD_1
	v_and_b32_e32 v48, 0xf0f0f0f, v41
	v_lshrrev_b32_e32 v41, 4, v41
	v_lshlrev_b32_e32 v212, 4, v180
	v_lshlrev_b32_e32 v213, 11, v180
	;; [unrolled: 1-line block ×4, first 2 shown]
	v_and_b32_e32 v41, 0xf0f0f0f, v41
	v_and_b32_e32 v214, 0x100000, v214
	;; [unrolled: 1-line block ×5, first 2 shown]
	v_or3_b32 v41, v180, v41, v214
	v_or3_b32 v180, v41, v212, v213
	global_load_dwordx2 v[212:213], v[32:33], off offset:144
	v_ashrrev_i32_e32 v181, v58, v47
	v_lshlrev_b32_e32 v217, 4, v181
	v_lshlrev_b32_e32 v218, 11, v181
	v_lshlrev_b32_e32 v219, 18, v181
	v_lshlrev_b32_e32 v181, 25, v181
	v_and_b32_e32 v219, 0x100000, v219
	v_and_b32_e32 v181, 0x10000000, v181
	v_or3_b32 v51, v181, v215, v219
	global_load_dwordx2 v[214:215], v[32:33], off offset:168
	v_cvt_f32_f16_e32 v43, v46
	v_cvt_f32_f16_sdwa v42, v46 dst_sel:DWORD dst_unused:UNUSED_PAD src0_sel:WORD_1
	v_ashrrev_i32_e32 v46, v203, v47
	v_ashrrev_i32_e32 v47, v58, v49
	v_lshlrev_b32_e32 v184, 4, v52
	v_lshlrev_b32_e32 v185, 11, v52
	;; [unrolled: 1-line block ×12, first 2 shown]
	v_and_b32_e32 v189, 0x100000, v189
	v_and_b32_e32 v52, 0x10000000, v52
	;; [unrolled: 1-line block ×15, first 2 shown]
	v_or3_b32 v48, v52, v48, v189
	v_or3_b32 v46, v46, v50, v222
	;; [unrolled: 1-line block ×3, first 2 shown]
	v_ashrrev_i32_e32 v41, v203, v49
	v_or3_b32 v185, v48, v184, v185
	v_or3_b32 v52, v51, v217, v218
	;; [unrolled: 1-line block ×4, first 2 shown]
	v_lshlrev_b32_e32 v47, 4, v41
	v_lshlrev_b32_e32 v48, 11, v41
	;; [unrolled: 1-line block ×4, first 2 shown]
	v_and_b32_e32 v49, 0x100000, v49
	v_and_b32_e32 v41, 0x10000000, v41
	;; [unrolled: 1-line block ×4, first 2 shown]
	v_or3_b32 v41, v41, v227, v49
	v_or3_b32 v49, v41, v47, v48
	s_waitcnt vmcnt(9)
	v_ashrrev_i32_e32 v47, v58, v55
	v_lshlrev_b32_e32 v48, 4, v47
	v_lshlrev_b32_e32 v50, 11, v47
	;; [unrolled: 1-line block ×4, first 2 shown]
	s_waitcnt vmcnt(6)
	v_and_b32_e32 v41, 0xf0f0f0f, v53
	v_and_b32_e32 v181, 0x100000, v181
	;; [unrolled: 1-line block ×5, first 2 shown]
	v_or3_b32 v41, v47, v41, v181
	v_or3_b32 v50, v41, v48, v50
	v_lshrrev_b32_e32 v41, 4, v53
	v_ashrrev_i32_e32 v53, v203, v55
	v_cvt_f32_f16_e32 v47, v54
	v_cvt_f32_f16_sdwa v48, v54 dst_sel:DWORD dst_unused:UNUSED_PAD src0_sel:WORD_1
	v_lshlrev_b32_e32 v54, 4, v53
	v_lshlrev_b32_e32 v55, 11, v53
	;; [unrolled: 1-line block ×4, first 2 shown]
	v_and_b32_e32 v41, 0xf0f0f0f, v41
	v_and_b32_e32 v181, 0x100000, v181
	;; [unrolled: 1-line block ×5, first 2 shown]
	v_or3_b32 v41, v53, v41, v181
	v_ashrrev_i32_e32 v32, v58, v183
	v_or3_b32 v53, v41, v54, v55
	v_lshlrev_b32_e32 v33, 4, v32
	v_lshlrev_b32_e32 v54, 11, v32
	;; [unrolled: 1-line block ×4, first 2 shown]
	s_waitcnt vmcnt(5)
	v_and_b32_e32 v41, 0xf0f0f0f, v93
	v_and_b32_e32 v55, 0x100000, v55
	;; [unrolled: 1-line block ×5, first 2 shown]
	v_or3_b32 v32, v32, v41, v55
	v_ashrrev_i32_e32 v55, v203, v183
	v_or3_b32 v54, v32, v33, v54
	v_cvt_f32_f16_e32 v32, v182
	v_cvt_f32_f16_sdwa v33, v182 dst_sel:DWORD dst_unused:UNUSED_PAD src0_sel:WORD_1
	v_lshrrev_b32_e32 v41, 4, v93
	v_lshlrev_b32_e32 v93, 4, v55
	v_lshlrev_b32_e32 v181, 11, v55
	v_lshlrev_b32_e32 v182, 18, v55
	v_lshlrev_b32_e32 v55, 25, v55
	v_and_b32_e32 v41, 0xf0f0f0f, v41
	v_and_b32_e32 v182, 0x100000, v182
	v_and_b32_e32 v55, 0x10000000, v55
	v_and_b32_e32 v93, 16, v93
	v_and_b32_e32 v181, 0x1000, v181
	v_or3_b32 v41, v55, v41, v182
	v_ashrrev_i32_e32 v55, v58, v187
	v_or3_b32 v184, v41, v93, v181
	v_lshlrev_b32_e32 v93, 4, v55
	v_lshlrev_b32_e32 v181, 11, v55
	;; [unrolled: 1-line block ×4, first 2 shown]
	s_waitcnt vmcnt(4)
	v_and_b32_e32 v41, 0xf0f0f0f, v188
	v_and_b32_e32 v182, 0x100000, v182
	;; [unrolled: 1-line block ×5, first 2 shown]
	v_or3_b32 v41, v55, v41, v182
	v_ashrrev_i32_e32 v182, v203, v187
	v_or3_b32 v181, v41, v93, v181
	v_cvt_f32_f16_e32 v55, v186
	v_cvt_f32_f16_sdwa v93, v186 dst_sel:DWORD dst_unused:UNUSED_PAD src0_sel:WORD_1
	v_lshrrev_b32_e32 v41, 4, v188
	v_lshlrev_b32_e32 v183, 4, v182
	v_lshlrev_b32_e32 v186, 11, v182
	;; [unrolled: 1-line block ×4, first 2 shown]
	v_and_b32_e32 v41, 0xf0f0f0f, v41
	v_and_b32_e32 v187, 0x100000, v187
	;; [unrolled: 1-line block ×5, first 2 shown]
	v_or3_b32 v41, v182, v41, v187
	s_waitcnt vmcnt(1)
	v_ashrrev_i32_e32 v182, v58, v213
	v_or3_b32 v189, v41, v183, v186
	v_lshlrev_b32_e32 v183, 4, v182
	v_lshlrev_b32_e32 v186, 11, v182
	;; [unrolled: 1-line block ×4, first 2 shown]
	v_and_b32_e32 v41, 0xf0f0f0f, v211
	v_and_b32_e32 v187, 0x100000, v187
	;; [unrolled: 1-line block ×5, first 2 shown]
	v_or3_b32 v41, v182, v41, v187
	v_ashrrev_i32_e32 v187, v203, v213
	v_or3_b32 v186, v41, v183, v186
	v_cvt_f32_f16_e32 v182, v212
	v_cvt_f32_f16_sdwa v183, v212 dst_sel:DWORD dst_unused:UNUSED_PAD src0_sel:WORD_1
	v_lshrrev_b32_e32 v41, 4, v211
	v_lshlrev_b32_e32 v188, 4, v187
	v_lshlrev_b32_e32 v211, 11, v187
	;; [unrolled: 1-line block ×4, first 2 shown]
	v_and_b32_e32 v41, 0xf0f0f0f, v41
	v_and_b32_e32 v212, 0x100000, v212
	;; [unrolled: 1-line block ×5, first 2 shown]
	v_or3_b32 v41, v187, v41, v212
	s_waitcnt vmcnt(0)
	v_ashrrev_i32_e32 v187, v58, v215
	v_or3_b32 v212, v41, v188, v211
	v_lshlrev_b32_e32 v188, 4, v187
	v_lshlrev_b32_e32 v211, 11, v187
	;; [unrolled: 1-line block ×4, first 2 shown]
	v_and_b32_e32 v41, 0xf0f0f0f, v216
	v_and_b32_e32 v213, 0x100000, v213
	;; [unrolled: 1-line block ×5, first 2 shown]
	v_or3_b32 v41, v187, v41, v213
	v_ashrrev_i32_e32 v213, v203, v215
	v_or3_b32 v211, v41, v188, v211
	v_cvt_f32_f16_e32 v187, v214
	v_cvt_f32_f16_sdwa v188, v214 dst_sel:DWORD dst_unused:UNUSED_PAD src0_sel:WORD_1
	v_lshrrev_b32_e32 v41, 4, v216
	v_lshlrev_b32_e32 v214, 4, v213
	v_lshlrev_b32_e32 v215, 11, v213
	v_lshlrev_b32_e32 v216, 18, v213
	v_lshlrev_b32_e32 v213, 25, v213
	v_and_b32_e32 v41, 0xf0f0f0f, v41
	v_and_b32_e32 v216, 0x100000, v216
	;; [unrolled: 1-line block ×5, first 2 shown]
	v_or3_b32 v41, v213, v41, v216
	v_or3_b32 v213, v41, v214, v215
	v_mov_b32_e32 v41, 0
	v_mov_b32_e32 v216, 0
	v_dot4c_i32_i8_e32 v41, v185, v60
	v_dot4c_i32_i8_e32 v216, v180, v61
	v_mul_f32_e32 v215, v1, v44
	v_mul_f32_e32 v214, v0, v45
	v_cvt_f32_i32_e32 v41, v41
	v_cvt_f32_i32_e32 v216, v216
	v_mul_f32_e32 v215, 0x3e000000, v215
	v_mov_b32_e32 v217, 0
	v_fma_f32 v41, v214, v41, v215
	v_fmac_f32_e32 v215, v214, v216
	v_mov_b32_e32 v214, 0
	v_dot4c_i32_i8_e32 v214, v52, v62
	v_dot4c_i32_i8_e32 v217, v51, v63
	v_add_f32_e32 v41, 0, v41
	v_mul_f32_e32 v216, v3, v42
	v_cvt_f32_i32_e32 v214, v214
	v_cvt_f32_i32_e32 v217, v217
	v_add_f32_e32 v41, v215, v41
	v_mul_f32_e32 v215, v2, v43
	v_mul_f32_e32 v216, 0x3e000000, v216
	v_fma_f32 v214, v215, v214, v216
	v_add_f32_e32 v41, v41, v214
	v_mov_b32_e32 v214, 0
	v_fmac_f32_e32 v216, v215, v217
	v_dot4c_i32_i8_e32 v214, v46, v64
	v_mov_b32_e32 v217, 0
	v_dot4c_i32_i8_e32 v217, v49, v65
	v_add_f32_e32 v41, v216, v41
	v_cvt_f32_i32_e32 v214, v214
	v_mul_f32_e32 v216, v5, v34
	v_cvt_f32_i32_e32 v217, v217
	v_mul_f32_e32 v215, v4, v35
	v_mul_f32_e32 v216, 0x3e000000, v216
	v_fma_f32 v214, v215, v214, v216
	v_add_f32_e32 v41, v41, v214
	v_fmac_f32_e32 v216, v215, v217
	v_add_f32_e32 v41, v216, v41
	v_mov_b32_e32 v214, 0
	v_mov_b32_e32 v216, 0
	v_dot4c_i32_i8_e32 v214, v50, v66
	v_dot4c_i32_i8_e32 v216, v53, v67
	v_mul_f32_e32 v217, v7, v48
	v_mul_f32_e32 v218, 0x3e000000, v217
	v_cvt_f32_i32_e32 v215, v214
	v_cvt_f32_i32_e32 v214, v216
	v_mul_f32_e32 v216, v6, v47
	v_pk_fma_f32 v[214:215], v[216:217], v[214:215], v[218:219] op_sel_hi:[0,1,0]
	v_add_f32_e32 v41, v41, v215
	v_add_f32_e32 v41, v214, v41
	v_mov_b32_e32 v214, 0
	v_mov_b32_e32 v216, 0
	v_dot4c_i32_i8_e32 v214, v54, v68
	v_dot4c_i32_i8_e32 v216, v184, v69
	v_mul_f32_e32 v217, v9, v33
	v_mul_f32_e32 v218, 0x3e000000, v217
	v_cvt_f32_i32_e32 v215, v214
	v_cvt_f32_i32_e32 v214, v216
	v_mul_f32_e32 v216, v8, v32
	v_pk_fma_f32 v[214:215], v[216:217], v[214:215], v[218:219] op_sel_hi:[0,1,0]
	v_add_f32_e32 v41, v41, v215
	;; [unrolled: 12-line block ×5, first 2 shown]
	v_add_f32_e32 v41, v214, v41
	ds_bpermute_b32 v214, v197, v41
	v_cndmask_b32_e64 v215, 0, 1, s[18:19]
	v_cmp_ne_u32_e64 s[14:15], 1, v215
	s_waitcnt lgkmcnt(0)
	v_add_f32_e32 v41, v41, v214
	ds_bpermute_b32 v214, v198, v41
	s_waitcnt lgkmcnt(0)
	v_add_f32_e32 v41, v41, v214
	s_cbranch_vccnz .LBB28_27
; %bb.26:                               ;   in Loop: Header=BB28_21 Depth=1
	global_load_ushort v214, v40, s[28:29] offset:2
	s_waitcnt vmcnt(0)
	v_fma_mix_f32 v41, v194, v214, v41 op_sel_hi:[0,1,0]
.LBB28_27:                              ;   in Loop: Header=BB28_21 Depth=1
	v_mov_b32_e32 v214, 0
	v_dot4c_i32_i8_e32 v214, v185, v76
	v_mul_f32_e32 v44, v17, v44
	v_mul_f32_e32 v45, v16, v45
	;; [unrolled: 1-line block ×3, first 2 shown]
	v_cvt_f32_i32_e32 v185, v214
	v_mov_b32_e32 v214, 0
	v_dot4c_i32_i8_e32 v214, v180, v77
	v_mul_f32_e32 v42, v19, v42
	v_fma_f32 v185, v45, v185, v44
	v_add_f32_e32 v185, 0, v185
	v_cvt_f32_i32_e32 v180, v214
	v_mul_f32_e32 v43, v18, v43
	v_mul_f32_e32 v42, 0x3e000000, v42
	;; [unrolled: 1-line block ×3, first 2 shown]
	v_fmac_f32_e32 v44, v45, v180
	v_mov_b32_e32 v45, 0
	v_dot4c_i32_i8_e32 v45, v52, v78
	v_mov_b32_e32 v52, 0
	v_dot4c_i32_i8_e32 v52, v51, v79
	v_add_f32_e32 v44, v44, v185
	v_cvt_f32_i32_e32 v45, v45
	v_mul_f32_e32 v35, v20, v35
	v_cvt_f32_i32_e32 v51, v52
	v_mul_f32_e32 v34, 0x3e000000, v34
	v_fma_f32 v45, v43, v45, v42
	v_add_f32_e32 v44, v44, v45
	v_fmac_f32_e32 v42, v43, v51
	v_mov_b32_e32 v43, 0
	v_add_f32_e32 v42, v42, v44
	v_dot4c_i32_i8_e32 v43, v46, v80
	v_mov_b32_e32 v44, 0
	v_dot4c_i32_i8_e32 v44, v49, v81
	v_mul_f32_e32 v33, v25, v33
	v_cvt_f32_i32_e32 v43, v43
	v_mul_f32_e32 v32, v24, v32
	v_cvt_f32_i32_e32 v44, v44
	s_and_b64 vcc, exec, s[12:13]
	v_fma_f32 v43, v35, v43, v34
	v_add_f32_e32 v42, v42, v43
	v_fmac_f32_e32 v34, v35, v44
	v_add_f32_e32 v43, v34, v42
	v_mov_b32_e32 v34, 0
	v_mov_b32_e32 v42, 0
	v_dot4c_i32_i8_e32 v34, v50, v82
	v_dot4c_i32_i8_e32 v42, v53, v83
	v_mul_f32_e32 v44, v23, v48
	v_mul_f32_e32 v44, 0x3e000000, v44
	v_cvt_f32_i32_e32 v35, v34
	v_cvt_f32_i32_e32 v34, v42
	v_mul_f32_e32 v42, v22, v47
	v_pk_fma_f32 v[34:35], v[42:43], v[34:35], v[44:45] op_sel_hi:[0,1,0]
	v_add_f32_e32 v35, v43, v35
	v_add_f32_e32 v43, v34, v35
	v_mov_b32_e32 v34, 0
	v_mov_b32_e32 v42, 0
	v_dot4c_i32_i8_e32 v34, v54, v84
	v_dot4c_i32_i8_e32 v42, v184, v85
	s_nop 1
	v_cvt_f32_i32_e32 v35, v34
	v_cvt_f32_i32_e32 v34, v42
	v_mul_f32_e32 v42, 0x3e000000, v33
	v_pk_fma_f32 v[32:33], v[32:33], v[34:35], v[42:43] op_sel_hi:[0,1,0]
	v_add_f32_e32 v33, v43, v33
	v_add_f32_e32 v35, v32, v33
	v_mov_b32_e32 v32, 0
	v_mov_b32_e32 v34, 0
	v_dot4c_i32_i8_e32 v32, v181, v86
	v_dot4c_i32_i8_e32 v34, v189, v87
	v_mul_f32_e32 v42, v27, v93
	v_mul_f32_e32 v42, 0x3e000000, v42
	v_cvt_f32_i32_e32 v33, v32
	v_cvt_f32_i32_e32 v32, v34
	v_mul_f32_e32 v34, v26, v55
	v_pk_fma_f32 v[32:33], v[34:35], v[32:33], v[42:43] op_sel_hi:[0,1,0]
	v_add_f32_e32 v33, v35, v33
	v_add_f32_e32 v35, v32, v33
	v_mov_b32_e32 v32, 0
	v_mov_b32_e32 v34, 0
	v_dot4c_i32_i8_e32 v32, v186, v88
	v_dot4c_i32_i8_e32 v34, v212, v89
	v_mul_f32_e32 v42, v29, v183
	v_mul_f32_e32 v42, 0x3e000000, v42
	;; [unrolled: 12-line block ×3, first 2 shown]
	v_cvt_f32_i32_e32 v33, v32
	v_cvt_f32_i32_e32 v32, v34
	v_mul_f32_e32 v34, v30, v187
	v_pk_fma_f32 v[32:33], v[34:35], v[32:33], v[42:43] op_sel_hi:[0,1,0]
	v_add_f32_e32 v33, v35, v33
	v_add_f32_e32 v32, v32, v33
	ds_bpermute_b32 v33, v197, v32
	s_waitcnt lgkmcnt(0)
	v_add_f32_e32 v32, v32, v33
	ds_bpermute_b32 v33, v198, v32
	s_waitcnt lgkmcnt(0)
	v_add_f32_e32 v42, v32, v33
	v_lshl_add_u64 v[32:33], v[176:177], 1, s[28:29]
	s_cbranch_vccnz .LBB28_29
; %bb.28:                               ;   in Loop: Header=BB28_21 Depth=1
	global_load_ushort v34, v[32:33], off offset:2
	s_waitcnt vmcnt(0)
	v_fma_mix_f32 v42, v194, v34, v42 op_sel_hi:[0,1,0]
.LBB28_29:                              ;   in Loop: Header=BB28_21 Depth=1
	v_lshl_add_u64 v[34:35], s[42:43], 0, v[100:101]
	global_load_dwordx2 v[44:45], v[34:35], off
	global_load_dwordx2 v[50:51], v[34:35], off offset:24
	global_load_dwordx2 v[52:53], v[34:35], off offset:48
	v_lshl_add_u64 v[46:47], v[34:35], 0, v[58:59]
	global_load_dword v43, v[46:47], off offset:8
	global_load_dword v54, v[46:47], off offset:32
	;; [unrolled: 1-line block ×3, first 2 shown]
	global_load_dwordx2 v[180:181], v[34:35], off offset:72
	global_load_dwordx2 v[182:183], v[34:35], off offset:96
	;; [unrolled: 1-line block ×3, first 2 shown]
	global_load_dword v185, v[46:47], off offset:80
	global_load_dword v188, v[46:47], off offset:104
	;; [unrolled: 1-line block ×5, first 2 shown]
	s_and_b64 vcc, exec, s[14:15]
	s_waitcnt vmcnt(9)
	v_and_b32_e32 v220, 0xf0f0f0f, v54
	s_waitcnt vmcnt(8)
	v_and_b32_e32 v227, 0xf0f0f0f, v55
	v_lshrrev_b32_e32 v55, 4, v55
	v_and_b32_e32 v231, 0xf0f0f0f, v55
	v_lshrrev_b32_e32 v54, 4, v54
	v_ashrrev_i32_e32 v93, v58, v45
	v_ashrrev_i32_e32 v189, v58, v51
	v_lshlrev_b32_e32 v212, 4, v93
	v_lshlrev_b32_e32 v213, 11, v93
	;; [unrolled: 1-line block ×4, first 2 shown]
	v_cvt_f32_f16_e32 v49, v44
	v_cvt_f32_f16_sdwa v48, v44 dst_sel:DWORD dst_unused:UNUSED_PAD src0_sel:WORD_1
	v_ashrrev_i32_e32 v184, v203, v45
	v_cvt_f32_f16_e32 v45, v52
	v_cvt_f32_f16_sdwa v44, v52 dst_sel:DWORD dst_unused:UNUSED_PAD src0_sel:WORD_1
	v_and_b32_e32 v52, 0xf0f0f0f, v43
	v_lshlrev_b32_e32 v221, 4, v189
	v_lshlrev_b32_e32 v222, 11, v189
	;; [unrolled: 1-line block ×4, first 2 shown]
	v_and_b32_e32 v214, 0x100000, v214
	v_and_b32_e32 v93, 0x10000000, v93
	;; [unrolled: 1-line block ×6, first 2 shown]
	v_or3_b32 v52, v93, v52, v214
	v_or3_b32 v55, v189, v220, v223
	;; [unrolled: 1-line block ×3, first 2 shown]
	global_load_dwordx2 v[212:213], v[34:35], off offset:144
	v_lshrrev_b32_e32 v43, 4, v43
	v_lshlrev_b32_e32 v216, 4, v184
	v_lshlrev_b32_e32 v218, 11, v184
	v_lshlrev_b32_e32 v219, 18, v184
	v_lshlrev_b32_e32 v184, 25, v184
	v_and_b32_e32 v43, 0xf0f0f0f, v43
	v_and_b32_e32 v219, 0x100000, v219
	;; [unrolled: 1-line block ×5, first 2 shown]
	v_or3_b32 v43, v184, v43, v219
	v_or3_b32 v184, v43, v216, v218
	global_load_dwordx2 v[218:219], v[34:35], off offset:168
	v_cvt_f32_f16_e32 v47, v50
	v_cvt_f32_f16_sdwa v46, v50 dst_sel:DWORD dst_unused:UNUSED_PAD src0_sel:WORD_1
	v_ashrrev_i32_e32 v50, v203, v51
	v_ashrrev_i32_e32 v51, v58, v53
	v_lshlrev_b32_e32 v224, 4, v50
	v_lshlrev_b32_e32 v225, 11, v50
	;; [unrolled: 1-line block ×8, first 2 shown]
	v_and_b32_e32 v54, 0xf0f0f0f, v54
	v_and_b32_e32 v226, 0x100000, v226
	;; [unrolled: 1-line block ×11, first 2 shown]
	v_or3_b32 v50, v50, v54, v226
	v_or3_b32 v51, v51, v227, v230
	v_ashrrev_i32_e32 v43, v203, v53
	v_or3_b32 v93, v55, v221, v222
	v_or3_b32 v55, v50, v224, v225
	;; [unrolled: 1-line block ×3, first 2 shown]
	v_lshlrev_b32_e32 v51, 4, v43
	v_lshlrev_b32_e32 v52, 11, v43
	;; [unrolled: 1-line block ×4, first 2 shown]
	v_and_b32_e32 v53, 0x100000, v53
	v_and_b32_e32 v43, 0x10000000, v43
	;; [unrolled: 1-line block ×4, first 2 shown]
	v_or3_b32 v43, v43, v231, v53
	v_or3_b32 v53, v43, v51, v52
	s_waitcnt vmcnt(9)
	v_ashrrev_i32_e32 v51, v58, v181
	v_lshlrev_b32_e32 v52, 4, v51
	v_lshlrev_b32_e32 v54, 11, v51
	;; [unrolled: 1-line block ×4, first 2 shown]
	s_waitcnt vmcnt(6)
	v_and_b32_e32 v43, 0xf0f0f0f, v185
	v_and_b32_e32 v214, 0x100000, v214
	;; [unrolled: 1-line block ×5, first 2 shown]
	v_or3_b32 v43, v51, v43, v214
	v_or3_b32 v54, v43, v52, v54
	v_cvt_f32_f16_e32 v51, v180
	v_cvt_f32_f16_sdwa v52, v180 dst_sel:DWORD dst_unused:UNUSED_PAD src0_sel:WORD_1
	v_ashrrev_i32_e32 v180, v203, v181
	v_lshrrev_b32_e32 v43, 4, v185
	v_lshlrev_b32_e32 v181, 4, v180
	v_lshlrev_b32_e32 v185, 11, v180
	;; [unrolled: 1-line block ×4, first 2 shown]
	v_and_b32_e32 v43, 0xf0f0f0f, v43
	v_and_b32_e32 v214, 0x100000, v214
	;; [unrolled: 1-line block ×5, first 2 shown]
	v_or3_b32 v43, v180, v43, v214
	v_ashrrev_i32_e32 v34, v58, v183
	v_or3_b32 v180, v43, v181, v185
	v_lshlrev_b32_e32 v35, 4, v34
	v_lshlrev_b32_e32 v181, 11, v34
	;; [unrolled: 1-line block ×4, first 2 shown]
	s_waitcnt vmcnt(5)
	v_and_b32_e32 v43, 0xf0f0f0f, v188
	v_and_b32_e32 v185, 0x100000, v185
	;; [unrolled: 1-line block ×5, first 2 shown]
	v_or3_b32 v34, v34, v43, v185
	v_or3_b32 v181, v34, v35, v181
	v_cvt_f32_f16_e32 v34, v182
	v_cvt_f32_f16_sdwa v35, v182 dst_sel:DWORD dst_unused:UNUSED_PAD src0_sel:WORD_1
	v_ashrrev_i32_e32 v182, v203, v183
	v_lshrrev_b32_e32 v43, 4, v188
	v_lshlrev_b32_e32 v183, 4, v182
	v_lshlrev_b32_e32 v185, 11, v182
	;; [unrolled: 1-line block ×4, first 2 shown]
	v_and_b32_e32 v43, 0xf0f0f0f, v43
	v_and_b32_e32 v188, 0x100000, v188
	;; [unrolled: 1-line block ×5, first 2 shown]
	v_or3_b32 v43, v182, v43, v188
	v_ashrrev_i32_e32 v182, v58, v187
	v_or3_b32 v188, v43, v183, v185
	v_lshlrev_b32_e32 v183, 4, v182
	v_lshlrev_b32_e32 v185, 11, v182
	;; [unrolled: 1-line block ×4, first 2 shown]
	s_waitcnt vmcnt(4)
	v_and_b32_e32 v43, 0xf0f0f0f, v211
	v_and_b32_e32 v214, 0x100000, v214
	;; [unrolled: 1-line block ×5, first 2 shown]
	v_or3_b32 v43, v182, v43, v214
	v_or3_b32 v185, v43, v183, v185
	v_cvt_f32_f16_e32 v182, v186
	v_cvt_f32_f16_sdwa v183, v186 dst_sel:DWORD dst_unused:UNUSED_PAD src0_sel:WORD_1
	v_ashrrev_i32_e32 v186, v203, v187
	v_lshrrev_b32_e32 v43, 4, v211
	v_lshlrev_b32_e32 v187, 4, v186
	v_lshlrev_b32_e32 v211, 11, v186
	;; [unrolled: 1-line block ×4, first 2 shown]
	v_and_b32_e32 v43, 0xf0f0f0f, v43
	v_and_b32_e32 v214, 0x100000, v214
	;; [unrolled: 1-line block ×5, first 2 shown]
	v_or3_b32 v43, v186, v43, v214
	s_waitcnt vmcnt(1)
	v_ashrrev_i32_e32 v186, v58, v213
	v_or3_b32 v214, v43, v187, v211
	v_lshlrev_b32_e32 v187, 4, v186
	v_lshlrev_b32_e32 v211, 11, v186
	;; [unrolled: 1-line block ×4, first 2 shown]
	v_and_b32_e32 v43, 0xf0f0f0f, v215
	v_and_b32_e32 v216, 0x100000, v216
	;; [unrolled: 1-line block ×5, first 2 shown]
	v_or3_b32 v43, v186, v43, v216
	v_or3_b32 v211, v43, v187, v211
	v_cvt_f32_f16_e32 v186, v212
	v_cvt_f32_f16_sdwa v187, v212 dst_sel:DWORD dst_unused:UNUSED_PAD src0_sel:WORD_1
	v_ashrrev_i32_e32 v212, v203, v213
	v_lshrrev_b32_e32 v43, 4, v215
	v_lshlrev_b32_e32 v213, 4, v212
	v_lshlrev_b32_e32 v215, 11, v212
	;; [unrolled: 1-line block ×4, first 2 shown]
	v_and_b32_e32 v43, 0xf0f0f0f, v43
	v_and_b32_e32 v216, 0x100000, v216
	;; [unrolled: 1-line block ×5, first 2 shown]
	v_or3_b32 v43, v212, v43, v216
	s_waitcnt vmcnt(0)
	v_ashrrev_i32_e32 v212, v58, v219
	v_or3_b32 v216, v43, v213, v215
	v_lshlrev_b32_e32 v213, 4, v212
	v_lshlrev_b32_e32 v215, 11, v212
	;; [unrolled: 1-line block ×4, first 2 shown]
	v_and_b32_e32 v43, 0xf0f0f0f, v217
	v_and_b32_e32 v220, 0x100000, v220
	;; [unrolled: 1-line block ×5, first 2 shown]
	v_or3_b32 v43, v212, v43, v220
	v_or3_b32 v215, v43, v213, v215
	v_lshrrev_b32_e32 v43, 4, v217
	v_ashrrev_i32_e32 v217, v203, v219
	v_cvt_f32_f16_e32 v212, v218
	v_cvt_f32_f16_sdwa v213, v218 dst_sel:DWORD dst_unused:UNUSED_PAD src0_sel:WORD_1
	v_lshlrev_b32_e32 v218, 4, v217
	v_lshlrev_b32_e32 v219, 11, v217
	;; [unrolled: 1-line block ×4, first 2 shown]
	v_and_b32_e32 v43, 0xf0f0f0f, v43
	v_and_b32_e32 v220, 0x100000, v220
	;; [unrolled: 1-line block ×5, first 2 shown]
	v_or3_b32 v43, v217, v43, v220
	v_or3_b32 v217, v43, v218, v219
	v_mov_b32_e32 v43, 0
	v_mov_b32_e32 v220, 0
	v_dot4c_i32_i8_e32 v43, v189, v60
	v_dot4c_i32_i8_e32 v220, v184, v61
	v_mul_f32_e32 v219, v1, v48
	v_mul_f32_e32 v218, v0, v49
	v_cvt_f32_i32_e32 v43, v43
	v_cvt_f32_i32_e32 v220, v220
	v_mul_f32_e32 v219, 0x3e000000, v219
	v_mov_b32_e32 v221, 0
	v_fma_f32 v43, v218, v43, v219
	v_fmac_f32_e32 v219, v218, v220
	v_mov_b32_e32 v218, 0
	v_dot4c_i32_i8_e32 v218, v93, v62
	v_dot4c_i32_i8_e32 v221, v55, v63
	v_add_f32_e32 v43, 0, v43
	v_mul_f32_e32 v220, v3, v46
	v_cvt_f32_i32_e32 v218, v218
	v_cvt_f32_i32_e32 v221, v221
	v_add_f32_e32 v43, v219, v43
	v_mul_f32_e32 v219, v2, v47
	v_mul_f32_e32 v220, 0x3e000000, v220
	v_fma_f32 v218, v219, v218, v220
	v_add_f32_e32 v43, v43, v218
	v_mov_b32_e32 v218, 0
	v_fmac_f32_e32 v220, v219, v221
	v_dot4c_i32_i8_e32 v218, v50, v64
	v_mov_b32_e32 v221, 0
	v_dot4c_i32_i8_e32 v221, v53, v65
	v_add_f32_e32 v43, v220, v43
	v_cvt_f32_i32_e32 v218, v218
	v_mul_f32_e32 v220, v5, v44
	v_cvt_f32_i32_e32 v221, v221
	v_mul_f32_e32 v219, v4, v45
	v_mul_f32_e32 v220, 0x3e000000, v220
	v_fma_f32 v218, v219, v218, v220
	v_add_f32_e32 v43, v43, v218
	v_fmac_f32_e32 v220, v219, v221
	v_add_f32_e32 v43, v220, v43
	v_mov_b32_e32 v218, 0
	v_mov_b32_e32 v220, 0
	v_dot4c_i32_i8_e32 v218, v54, v66
	v_dot4c_i32_i8_e32 v220, v180, v67
	v_mul_f32_e32 v221, v7, v52
	v_mul_f32_e32 v222, 0x3e000000, v221
	v_cvt_f32_i32_e32 v219, v218
	v_cvt_f32_i32_e32 v218, v220
	v_mul_f32_e32 v220, v6, v51
	v_pk_fma_f32 v[218:219], v[220:221], v[218:219], v[222:223] op_sel_hi:[0,1,0]
	v_add_f32_e32 v43, v43, v219
	v_add_f32_e32 v43, v218, v43
	v_mov_b32_e32 v218, 0
	v_mov_b32_e32 v220, 0
	v_dot4c_i32_i8_e32 v218, v181, v68
	v_dot4c_i32_i8_e32 v220, v188, v69
	v_mul_f32_e32 v221, v9, v35
	v_mul_f32_e32 v222, 0x3e000000, v221
	v_cvt_f32_i32_e32 v219, v218
	v_cvt_f32_i32_e32 v218, v220
	v_mul_f32_e32 v220, v8, v34
	v_pk_fma_f32 v[218:219], v[220:221], v[218:219], v[222:223] op_sel_hi:[0,1,0]
	v_add_f32_e32 v43, v43, v219
	;; [unrolled: 12-line block ×5, first 2 shown]
	v_add_f32_e32 v43, v218, v43
	ds_bpermute_b32 v218, v197, v43
	s_waitcnt lgkmcnt(0)
	v_add_f32_e32 v43, v43, v218
	ds_bpermute_b32 v218, v198, v43
	s_waitcnt lgkmcnt(0)
	v_add_f32_e32 v43, v43, v218
	s_cbranch_vccnz .LBB28_31
; %bb.30:                               ;   in Loop: Header=BB28_21 Depth=1
	global_load_ushort v218, v40, s[28:29] offset:4
	s_waitcnt vmcnt(0)
	v_fma_mix_f32 v43, v194, v218, v43 op_sel_hi:[0,1,0]
.LBB28_31:                              ;   in Loop: Header=BB28_21 Depth=1
	v_mov_b32_e32 v218, 0
	v_dot4c_i32_i8_e32 v218, v189, v76
	v_mul_f32_e32 v48, v17, v48
	v_mul_f32_e32 v49, v16, v49
	;; [unrolled: 1-line block ×3, first 2 shown]
	v_cvt_f32_i32_e32 v189, v218
	v_mov_b32_e32 v218, 0
	v_dot4c_i32_i8_e32 v218, v184, v77
	v_mul_f32_e32 v46, v19, v46
	v_fma_f32 v189, v49, v189, v48
	v_add_f32_e32 v189, 0, v189
	v_cvt_f32_i32_e32 v184, v218
	v_mul_f32_e32 v47, v18, v47
	v_mul_f32_e32 v46, 0x3e000000, v46
	;; [unrolled: 1-line block ×3, first 2 shown]
	v_fmac_f32_e32 v48, v49, v184
	v_mov_b32_e32 v49, 0
	v_dot4c_i32_i8_e32 v49, v93, v78
	v_mov_b32_e32 v93, 0
	v_dot4c_i32_i8_e32 v93, v55, v79
	v_add_f32_e32 v48, v48, v189
	v_cvt_f32_i32_e32 v49, v49
	v_mul_f32_e32 v45, v20, v45
	v_cvt_f32_i32_e32 v55, v93
	v_mul_f32_e32 v44, 0x3e000000, v44
	v_fma_f32 v49, v47, v49, v46
	v_add_f32_e32 v48, v48, v49
	v_fmac_f32_e32 v46, v47, v55
	v_mov_b32_e32 v47, 0
	v_add_f32_e32 v46, v46, v48
	v_dot4c_i32_i8_e32 v47, v50, v80
	v_mov_b32_e32 v48, 0
	v_dot4c_i32_i8_e32 v48, v53, v81
	v_mul_f32_e32 v35, v25, v35
	v_cvt_f32_i32_e32 v47, v47
	v_mul_f32_e32 v34, v24, v34
	v_cvt_f32_i32_e32 v48, v48
	s_and_b64 vcc, exec, s[12:13]
	v_fma_f32 v47, v45, v47, v44
	v_add_f32_e32 v46, v46, v47
	v_fmac_f32_e32 v44, v45, v48
	v_add_f32_e32 v47, v44, v46
	v_mov_b32_e32 v44, 0
	v_mov_b32_e32 v46, 0
	v_dot4c_i32_i8_e32 v44, v54, v82
	v_dot4c_i32_i8_e32 v46, v180, v83
	v_mul_f32_e32 v48, v23, v52
	v_mul_f32_e32 v48, 0x3e000000, v48
	v_cvt_f32_i32_e32 v45, v44
	v_cvt_f32_i32_e32 v44, v46
	v_mul_f32_e32 v46, v22, v51
	v_pk_fma_f32 v[44:45], v[46:47], v[44:45], v[48:49] op_sel_hi:[0,1,0]
	v_add_f32_e32 v45, v47, v45
	v_add_f32_e32 v47, v44, v45
	v_mov_b32_e32 v44, 0
	v_mov_b32_e32 v46, 0
	v_dot4c_i32_i8_e32 v44, v181, v84
	v_dot4c_i32_i8_e32 v46, v188, v85
	s_nop 1
	v_cvt_f32_i32_e32 v45, v44
	v_cvt_f32_i32_e32 v44, v46
	v_mul_f32_e32 v46, 0x3e000000, v35
	v_pk_fma_f32 v[34:35], v[34:35], v[44:45], v[46:47] op_sel_hi:[0,1,0]
	v_add_f32_e32 v35, v47, v35
	v_add_f32_e32 v45, v34, v35
	v_mov_b32_e32 v34, 0
	v_mov_b32_e32 v44, 0
	v_dot4c_i32_i8_e32 v34, v185, v86
	v_dot4c_i32_i8_e32 v44, v214, v87
	v_mul_f32_e32 v46, v27, v183
	v_mul_f32_e32 v46, 0x3e000000, v46
	v_cvt_f32_i32_e32 v35, v34
	v_cvt_f32_i32_e32 v34, v44
	v_mul_f32_e32 v44, v26, v182
	v_pk_fma_f32 v[34:35], v[44:45], v[34:35], v[46:47] op_sel_hi:[0,1,0]
	v_add_f32_e32 v35, v45, v35
	v_add_f32_e32 v45, v34, v35
	v_mov_b32_e32 v34, 0
	v_mov_b32_e32 v44, 0
	v_dot4c_i32_i8_e32 v34, v211, v88
	v_dot4c_i32_i8_e32 v44, v216, v89
	v_mul_f32_e32 v46, v29, v187
	v_mul_f32_e32 v46, 0x3e000000, v46
	;; [unrolled: 12-line block ×3, first 2 shown]
	v_cvt_f32_i32_e32 v35, v34
	v_cvt_f32_i32_e32 v34, v44
	v_mul_f32_e32 v44, v30, v212
	v_pk_fma_f32 v[34:35], v[44:45], v[34:35], v[46:47] op_sel_hi:[0,1,0]
	v_add_f32_e32 v35, v45, v35
	v_add_f32_e32 v34, v34, v35
	ds_bpermute_b32 v35, v197, v34
	s_waitcnt lgkmcnt(0)
	v_add_f32_e32 v34, v34, v35
	ds_bpermute_b32 v35, v198, v34
	s_waitcnt lgkmcnt(0)
	v_add_f32_e32 v44, v34, v35
	s_cbranch_vccnz .LBB28_33
; %bb.32:                               ;   in Loop: Header=BB28_21 Depth=1
	global_load_ushort v34, v[32:33], off offset:4
	s_waitcnt vmcnt(0)
	v_fma_mix_f32 v44, v194, v34, v44 op_sel_hi:[0,1,0]
.LBB28_33:                              ;   in Loop: Header=BB28_21 Depth=1
	v_lshl_add_u64 v[34:35], s[42:43], 0, v[102:103]
	global_load_dwordx2 v[46:47], v[34:35], off
	global_load_dwordx2 v[52:53], v[34:35], off offset:24
	global_load_dwordx2 v[54:55], v[34:35], off offset:48
	v_lshl_add_u64 v[48:49], v[34:35], 0, v[58:59]
	global_load_dword v51, v[48:49], off offset:8
	global_load_dword v93, v[48:49], off offset:32
	;; [unrolled: 1-line block ×3, first 2 shown]
	global_load_dwordx2 v[182:183], v[34:35], off offset:72
	global_load_dwordx2 v[186:187], v[34:35], off offset:96
	;; [unrolled: 1-line block ×3, first 2 shown]
	global_load_dword v181, v[48:49], off offset:80
	global_load_dword v184, v[48:49], off offset:104
	;; [unrolled: 1-line block ×5, first 2 shown]
	s_and_b64 vcc, exec, s[14:15]
	s_waitcnt vmcnt(9)
	v_and_b32_e32 v222, 0xf0f0f0f, v93
	s_waitcnt vmcnt(8)
	v_and_b32_e32 v229, 0xf0f0f0f, v180
	v_lshrrev_b32_e32 v180, 4, v180
	v_and_b32_e32 v233, 0xf0f0f0f, v180
	v_lshrrev_b32_e32 v93, 4, v93
	v_ashrrev_i32_e32 v185, v58, v47
	v_ashrrev_i32_e32 v211, v58, v53
	v_lshlrev_b32_e32 v215, 4, v185
	v_lshlrev_b32_e32 v216, 11, v185
	;; [unrolled: 1-line block ×4, first 2 shown]
	v_cvt_f32_f16_e32 v50, v46
	v_cvt_f32_f16_sdwa v49, v46 dst_sel:DWORD dst_unused:UNUSED_PAD src0_sel:WORD_1
	v_cvt_f32_f16_e32 v46, v54
	v_cvt_f32_f16_sdwa v45, v54 dst_sel:DWORD dst_unused:UNUSED_PAD src0_sel:WORD_1
	v_and_b32_e32 v54, 0xf0f0f0f, v51
	v_lshlrev_b32_e32 v223, 4, v211
	v_lshlrev_b32_e32 v224, 11, v211
	;; [unrolled: 1-line block ×4, first 2 shown]
	v_and_b32_e32 v217, 0x100000, v217
	v_and_b32_e32 v185, 0x10000000, v185
	;; [unrolled: 1-line block ×6, first 2 shown]
	v_or3_b32 v54, v185, v54, v217
	v_or3_b32 v180, v211, v222, v225
	;; [unrolled: 1-line block ×3, first 2 shown]
	global_load_dwordx2 v[216:217], v[34:35], off offset:144
	v_ashrrev_i32_e32 v189, v203, v47
	v_lshrrev_b32_e32 v51, 4, v51
	v_lshlrev_b32_e32 v218, 4, v189
	v_lshlrev_b32_e32 v219, 11, v189
	;; [unrolled: 1-line block ×4, first 2 shown]
	v_and_b32_e32 v51, 0xf0f0f0f, v51
	v_and_b32_e32 v221, 0x100000, v221
	;; [unrolled: 1-line block ×5, first 2 shown]
	v_or3_b32 v51, v189, v51, v221
	v_or3_b32 v185, v51, v218, v219
	global_load_dwordx2 v[218:219], v[34:35], off offset:168
	v_cvt_f32_f16_e32 v48, v52
	v_cvt_f32_f16_sdwa v47, v52 dst_sel:DWORD dst_unused:UNUSED_PAD src0_sel:WORD_1
	v_ashrrev_i32_e32 v52, v203, v53
	v_ashrrev_i32_e32 v53, v58, v55
	v_lshlrev_b32_e32 v226, 4, v52
	v_lshlrev_b32_e32 v227, 11, v52
	v_lshlrev_b32_e32 v228, 18, v52
	v_lshlrev_b32_e32 v52, 25, v52
	v_lshlrev_b32_e32 v230, 4, v53
	v_lshlrev_b32_e32 v231, 11, v53
	v_lshlrev_b32_e32 v232, 18, v53
	v_lshlrev_b32_e32 v53, 25, v53
	v_and_b32_e32 v93, 0xf0f0f0f, v93
	v_and_b32_e32 v228, 0x100000, v228
	;; [unrolled: 1-line block ×7, first 2 shown]
	v_or3_b32 v52, v52, v93, v228
	v_and_b32_e32 v230, 16, v230
	v_and_b32_e32 v231, 0x1000, v231
	v_or3_b32 v53, v53, v229, v232
	v_or3_b32 v93, v52, v226, v227
	v_ashrrev_i32_e32 v52, v203, v55
	v_or3_b32 v51, v53, v230, v231
	v_lshlrev_b32_e32 v53, 4, v52
	v_lshlrev_b32_e32 v54, 11, v52
	;; [unrolled: 1-line block ×4, first 2 shown]
	v_and_b32_e32 v55, 0x100000, v55
	v_and_b32_e32 v52, 0x10000000, v52
	v_and_b32_e32 v53, 16, v53
	v_and_b32_e32 v54, 0x1000, v54
	v_or3_b32 v52, v52, v233, v55
	v_or3_b32 v54, v52, v53, v54
	s_waitcnt vmcnt(9)
	v_ashrrev_i32_e32 v53, v58, v183
	v_lshlrev_b32_e32 v55, 4, v53
	v_lshlrev_b32_e32 v189, 11, v53
	;; [unrolled: 1-line block ×4, first 2 shown]
	s_waitcnt vmcnt(6)
	v_and_b32_e32 v52, 0xf0f0f0f, v181
	v_and_b32_e32 v215, 0x100000, v215
	;; [unrolled: 1-line block ×5, first 2 shown]
	v_or3_b32 v52, v53, v52, v215
	v_or3_b32 v55, v52, v55, v189
	v_cvt_f32_f16_e32 v52, v182
	v_cvt_f32_f16_sdwa v53, v182 dst_sel:DWORD dst_unused:UNUSED_PAD src0_sel:WORD_1
	v_ashrrev_i32_e32 v182, v203, v183
	v_lshrrev_b32_e32 v181, 4, v181
	v_lshlrev_b32_e32 v183, 4, v182
	v_lshlrev_b32_e32 v189, 11, v182
	;; [unrolled: 1-line block ×4, first 2 shown]
	v_and_b32_e32 v181, 0xf0f0f0f, v181
	v_and_b32_e32 v215, 0x100000, v215
	;; [unrolled: 1-line block ×5, first 2 shown]
	v_or3_b32 v181, v182, v181, v215
	v_ashrrev_i32_e32 v34, v58, v187
	v_or3_b32 v181, v181, v183, v189
	v_lshlrev_b32_e32 v35, 4, v34
	v_lshlrev_b32_e32 v183, 11, v34
	;; [unrolled: 1-line block ×4, first 2 shown]
	s_waitcnt vmcnt(5)
	v_and_b32_e32 v182, 0xf0f0f0f, v184
	v_and_b32_e32 v189, 0x100000, v189
	;; [unrolled: 1-line block ×5, first 2 shown]
	v_or3_b32 v34, v34, v182, v189
	v_or3_b32 v182, v34, v35, v183
	v_lshrrev_b32_e32 v183, 4, v184
	v_ashrrev_i32_e32 v184, v203, v187
	v_cvt_f32_f16_e32 v34, v186
	v_cvt_f32_f16_sdwa v35, v186 dst_sel:DWORD dst_unused:UNUSED_PAD src0_sel:WORD_1
	v_lshlrev_b32_e32 v186, 4, v184
	v_lshlrev_b32_e32 v187, 11, v184
	;; [unrolled: 1-line block ×4, first 2 shown]
	v_and_b32_e32 v183, 0xf0f0f0f, v183
	v_and_b32_e32 v189, 0x100000, v189
	;; [unrolled: 1-line block ×5, first 2 shown]
	v_or3_b32 v183, v184, v183, v189
	v_ashrrev_i32_e32 v184, v58, v213
	v_or3_b32 v189, v183, v186, v187
	v_lshlrev_b32_e32 v186, 4, v184
	v_lshlrev_b32_e32 v187, 11, v184
	;; [unrolled: 1-line block ×4, first 2 shown]
	s_waitcnt vmcnt(4)
	v_and_b32_e32 v183, 0xf0f0f0f, v188
	v_and_b32_e32 v215, 0x100000, v215
	;; [unrolled: 1-line block ×5, first 2 shown]
	v_or3_b32 v183, v184, v183, v215
	v_or3_b32 v186, v183, v186, v187
	v_lshrrev_b32_e32 v187, 4, v188
	v_ashrrev_i32_e32 v188, v203, v213
	v_cvt_f32_f16_e32 v183, v212
	v_cvt_f32_f16_sdwa v184, v212 dst_sel:DWORD dst_unused:UNUSED_PAD src0_sel:WORD_1
	v_lshlrev_b32_e32 v212, 4, v188
	v_lshlrev_b32_e32 v213, 11, v188
	;; [unrolled: 1-line block ×4, first 2 shown]
	v_and_b32_e32 v187, 0xf0f0f0f, v187
	v_and_b32_e32 v215, 0x100000, v215
	;; [unrolled: 1-line block ×5, first 2 shown]
	v_or3_b32 v187, v188, v187, v215
	s_waitcnt vmcnt(1)
	v_ashrrev_i32_e32 v188, v58, v217
	v_or3_b32 v215, v187, v212, v213
	v_lshlrev_b32_e32 v212, 4, v188
	v_lshlrev_b32_e32 v213, 11, v188
	;; [unrolled: 1-line block ×4, first 2 shown]
	v_and_b32_e32 v187, 0xf0f0f0f, v214
	v_and_b32_e32 v221, 0x100000, v221
	;; [unrolled: 1-line block ×5, first 2 shown]
	v_or3_b32 v187, v188, v187, v221
	v_or3_b32 v212, v187, v212, v213
	v_lshrrev_b32_e32 v213, 4, v214
	v_ashrrev_i32_e32 v214, v203, v217
	v_cvt_f32_f16_e32 v187, v216
	v_cvt_f32_f16_sdwa v188, v216 dst_sel:DWORD dst_unused:UNUSED_PAD src0_sel:WORD_1
	v_lshlrev_b32_e32 v216, 4, v214
	v_lshlrev_b32_e32 v217, 11, v214
	;; [unrolled: 1-line block ×4, first 2 shown]
	v_and_b32_e32 v213, 0xf0f0f0f, v213
	v_and_b32_e32 v221, 0x100000, v221
	;; [unrolled: 1-line block ×5, first 2 shown]
	v_or3_b32 v213, v214, v213, v221
	s_waitcnt vmcnt(0)
	v_ashrrev_i32_e32 v214, v58, v219
	v_or3_b32 v217, v213, v216, v217
	v_lshlrev_b32_e32 v216, 4, v214
	v_lshlrev_b32_e32 v221, 11, v214
	v_lshlrev_b32_e32 v222, 18, v214
	v_lshlrev_b32_e32 v214, 25, v214
	v_and_b32_e32 v213, 0xf0f0f0f, v220
	v_and_b32_e32 v222, 0x100000, v222
	;; [unrolled: 1-line block ×5, first 2 shown]
	v_or3_b32 v213, v214, v213, v222
	v_ashrrev_i32_e32 v219, v203, v219
	v_or3_b32 v216, v213, v216, v221
	v_cvt_f32_f16_e32 v213, v218
	v_cvt_f32_f16_sdwa v214, v218 dst_sel:DWORD dst_unused:UNUSED_PAD src0_sel:WORD_1
	v_lshrrev_b32_e32 v218, 4, v220
	v_lshlrev_b32_e32 v220, 4, v219
	v_lshlrev_b32_e32 v221, 11, v219
	;; [unrolled: 1-line block ×4, first 2 shown]
	v_and_b32_e32 v218, 0xf0f0f0f, v218
	v_and_b32_e32 v222, 0x100000, v222
	;; [unrolled: 1-line block ×3, first 2 shown]
	v_or3_b32 v218, v219, v218, v222
	v_mov_b32_e32 v219, 0
	v_mov_b32_e32 v222, 0
	v_dot4c_i32_i8_e32 v219, v211, v60
	v_dot4c_i32_i8_e32 v222, v185, v61
	v_and_b32_e32 v220, 16, v220
	v_and_b32_e32 v221, 0x1000, v221
	v_cvt_f32_i32_e32 v219, v219
	v_cvt_f32_i32_e32 v222, v222
	v_or3_b32 v218, v218, v220, v221
	v_mul_f32_e32 v221, v1, v49
	v_and_b32_e32 v223, 16, v223
	v_and_b32_e32 v224, 0x1000, v224
	v_mul_f32_e32 v220, v0, v50
	v_mul_f32_e32 v221, 0x3e000000, v221
	v_or3_b32 v180, v180, v223, v224
	v_fma_f32 v219, v220, v219, v221
	v_fmac_f32_e32 v221, v220, v222
	v_mov_b32_e32 v220, 0
	v_dot4c_i32_i8_e32 v220, v180, v62
	v_mov_b32_e32 v223, 0
	v_dot4c_i32_i8_e32 v223, v93, v63
	v_add_f32_e32 v219, 0, v219
	v_cvt_f32_i32_e32 v220, v220
	v_mul_f32_e32 v222, v3, v47
	v_cvt_f32_i32_e32 v223, v223
	v_add_f32_e32 v219, v221, v219
	v_mul_f32_e32 v221, v2, v48
	v_mul_f32_e32 v222, 0x3e000000, v222
	v_fma_f32 v220, v221, v220, v222
	v_add_f32_e32 v219, v219, v220
	v_mov_b32_e32 v220, 0
	v_fmac_f32_e32 v222, v221, v223
	v_dot4c_i32_i8_e32 v220, v51, v64
	v_mov_b32_e32 v223, 0
	v_dot4c_i32_i8_e32 v223, v54, v65
	v_add_f32_e32 v219, v222, v219
	v_cvt_f32_i32_e32 v220, v220
	v_mul_f32_e32 v222, v5, v45
	v_cvt_f32_i32_e32 v223, v223
	v_mul_f32_e32 v221, v4, v46
	v_mul_f32_e32 v222, 0x3e000000, v222
	v_fma_f32 v220, v221, v220, v222
	v_add_f32_e32 v219, v219, v220
	v_fmac_f32_e32 v222, v221, v223
	v_add_f32_e32 v219, v222, v219
	v_mov_b32_e32 v220, 0
	v_mov_b32_e32 v222, 0
	v_dot4c_i32_i8_e32 v220, v55, v66
	v_dot4c_i32_i8_e32 v222, v181, v67
	v_mul_f32_e32 v223, v7, v53
	v_mul_f32_e32 v224, 0x3e000000, v223
	v_cvt_f32_i32_e32 v221, v220
	v_cvt_f32_i32_e32 v220, v222
	v_mul_f32_e32 v222, v6, v52
	v_pk_fma_f32 v[220:221], v[222:223], v[220:221], v[224:225] op_sel_hi:[0,1,0]
	v_add_f32_e32 v219, v219, v221
	v_add_f32_e32 v219, v220, v219
	v_mov_b32_e32 v220, 0
	v_mov_b32_e32 v222, 0
	v_dot4c_i32_i8_e32 v220, v182, v68
	v_dot4c_i32_i8_e32 v222, v189, v69
	v_mul_f32_e32 v223, v9, v35
	v_mul_f32_e32 v224, 0x3e000000, v223
	v_cvt_f32_i32_e32 v221, v220
	v_cvt_f32_i32_e32 v220, v222
	v_mul_f32_e32 v222, v8, v34
	v_pk_fma_f32 v[220:221], v[222:223], v[220:221], v[224:225] op_sel_hi:[0,1,0]
	v_add_f32_e32 v219, v219, v221
	;; [unrolled: 12-line block ×5, first 2 shown]
	v_add_f32_e32 v219, v220, v219
	ds_bpermute_b32 v220, v197, v219
	s_waitcnt lgkmcnt(0)
	v_add_f32_e32 v219, v219, v220
	ds_bpermute_b32 v220, v198, v219
	s_waitcnt lgkmcnt(0)
	v_add_f32_e32 v219, v219, v220
	s_cbranch_vccnz .LBB28_35
; %bb.34:                               ;   in Loop: Header=BB28_21 Depth=1
	global_load_ushort v40, v40, s[28:29] offset:6
	s_waitcnt vmcnt(0)
	v_fma_mix_f32 v219, v194, v40, v219 op_sel_hi:[0,1,0]
.LBB28_35:                              ;   in Loop: Header=BB28_21 Depth=1
	v_mov_b32_e32 v40, 0
	v_dot4c_i32_i8_e32 v40, v211, v76
	v_mov_b32_e32 v211, 0
	v_dot4c_i32_i8_e32 v211, v185, v77
	v_mul_f32_e32 v49, v17, v49
	v_cvt_f32_i32_e32 v40, v40
	v_mul_f32_e32 v50, v16, v50
	v_cvt_f32_i32_e32 v185, v211
	v_mul_f32_e32 v49, 0x3e000000, v49
	v_fma_f32 v40, v50, v40, v49
	v_add_f32_e32 v40, 0, v40
	v_fmac_f32_e32 v49, v50, v185
	v_add_f32_e32 v40, v49, v40
	v_mov_b32_e32 v49, 0
	v_dot4c_i32_i8_e32 v49, v180, v78
	v_mov_b32_e32 v50, 0
	v_dot4c_i32_i8_e32 v50, v93, v79
	v_mul_f32_e32 v47, v19, v47
	v_cvt_f32_i32_e32 v49, v49
	v_mul_f32_e32 v48, v18, v48
	v_cvt_f32_i32_e32 v50, v50
	v_mul_f32_e32 v47, 0x3e000000, v47
	v_fma_f32 v49, v48, v49, v47
	v_add_f32_e32 v40, v40, v49
	v_fmac_f32_e32 v47, v48, v50
	v_add_f32_e32 v40, v47, v40
	;; [unrolled: 13-line block ×3, first 2 shown]
	v_mov_b32_e32 v40, 0
	v_mov_b32_e32 v46, 0
	v_dot4c_i32_i8_e32 v40, v55, v82
	v_dot4c_i32_i8_e32 v46, v181, v83
	v_mul_f32_e32 v48, v23, v53
	v_mul_f32_e32 v48, 0x3e000000, v48
	v_cvt_f32_i32_e32 v47, v40
	v_cvt_f32_i32_e32 v46, v46
	v_mul_f32_e32 v40, v22, v52
	v_mul_f32_e32 v35, v25, v35
	v_mul_f32_e32 v34, v24, v34
	v_pk_fma_f32 v[46:47], v[40:41], v[46:47], v[48:49] op_sel_hi:[0,1,0]
	v_add_f32_e32 v40, v45, v47
	v_add_f32_e32 v45, v46, v40
	v_mov_b32_e32 v40, 0
	v_mov_b32_e32 v46, 0
	v_dot4c_i32_i8_e32 v40, v182, v84
	v_dot4c_i32_i8_e32 v46, v189, v85
	s_and_b64 vcc, exec, s[12:13]
	s_nop 0
	v_cvt_f32_i32_e32 v47, v40
	v_cvt_f32_i32_e32 v46, v46
	v_mul_f32_e32 v40, 0x3e000000, v35
	v_pk_fma_f32 v[34:35], v[34:35], v[46:47], v[40:41] op_sel_hi:[0,1,0]
	v_add_f32_e32 v35, v45, v35
	v_add_f32_e32 v45, v34, v35
	v_mov_b32_e32 v34, 0
	v_mov_b32_e32 v40, 0
	v_dot4c_i32_i8_e32 v34, v186, v86
	v_dot4c_i32_i8_e32 v40, v215, v87
	v_mul_f32_e32 v46, v27, v184
	v_mul_f32_e32 v46, 0x3e000000, v46
	v_cvt_f32_i32_e32 v35, v34
	v_cvt_f32_i32_e32 v34, v40
	v_mul_f32_e32 v40, v26, v183
	v_pk_fma_f32 v[34:35], v[40:41], v[34:35], v[46:47] op_sel_hi:[0,1,0]
	v_add_f32_e32 v35, v45, v35
	v_add_f32_e32 v45, v34, v35
	v_mov_b32_e32 v34, 0
	v_mov_b32_e32 v40, 0
	v_dot4c_i32_i8_e32 v34, v212, v88
	v_dot4c_i32_i8_e32 v40, v217, v89
	v_mul_f32_e32 v46, v29, v188
	v_mul_f32_e32 v46, 0x3e000000, v46
	;; [unrolled: 12-line block ×3, first 2 shown]
	v_cvt_f32_i32_e32 v35, v34
	v_cvt_f32_i32_e32 v34, v40
	v_mul_f32_e32 v40, v30, v213
	v_pk_fma_f32 v[34:35], v[40:41], v[34:35], v[46:47] op_sel_hi:[0,1,0]
	v_add_f32_e32 v35, v45, v35
	v_add_f32_e32 v34, v34, v35
	ds_bpermute_b32 v35, v197, v34
	s_waitcnt lgkmcnt(0)
	v_add_f32_e32 v34, v34, v35
	ds_bpermute_b32 v35, v198, v34
	s_waitcnt lgkmcnt(0)
	v_add_f32_e32 v34, v34, v35
	s_cbranch_vccnz .LBB28_37
; %bb.36:                               ;   in Loop: Header=BB28_21 Depth=1
	global_load_ushort v32, v[32:33], off offset:6
	s_waitcnt vmcnt(0)
	v_fma_mix_f32 v34, v194, v32, v34 op_sel_hi:[0,1,0]
.LBB28_37:                              ;   in Loop: Header=BB28_21 Depth=1
	v_add_f32_e32 v32, 0x40051340, v38
	v_add_f32_e32 v33, 0x40051340, v41
	v_max3_f32 v32, v37, v32, v33
	v_add_f32_e32 v33, 0x40051340, v43
	v_add_f32_e32 v35, 0x40051340, v219
	v_max3_f32 v32, v32, v33, v35
	ds_bpermute_b32 v33, v199, v32
	v_cndmask_b32_e64 v35, v178, v38, s[16:17]
	v_cndmask_b32_e64 v38, v179, v39, s[16:17]
	;; [unrolled: 1-line block ×3, first 2 shown]
	v_add_f32_e32 v40, 0x40051340, v42
	s_waitcnt lgkmcnt(0)
	v_max_f32_e32 v33, v33, v33
	v_max_f32_e32 v32, v32, v33
	ds_bpermute_b32 v33, v200, v32
	v_cndmask_b32_e64 v35, v35, v41, s[6:7]
	v_cndmask_b32_e64 v35, v35, v43, s[8:9]
	;; [unrolled: 1-line block ×3, first 2 shown]
	v_add_f32_e32 v39, 0x40051340, v39
	s_waitcnt lgkmcnt(0)
	v_max_f32_e32 v33, v33, v33
	v_max_f32_e32 v32, v32, v33
	ds_bpermute_b32 v33, v201, v32
	v_max3_f32 v39, v36, v39, v40
	v_add_f32_e32 v40, 0x40051340, v44
	v_add_f32_e32 v41, 0x40051340, v34
	v_cndmask_b32_e64 v44, v38, v34, s[10:11]
	s_waitcnt lgkmcnt(0)
	v_max_f32_e32 v33, v33, v33
	v_max_f32_e32 v180, v32, v33
	v_sub_f32_e32 v32, v37, v180
	v_mul_f32_e32 v33, 0x3fb8aa3b, v32
	v_fma_f32 v37, v32, s31, -v33
	v_rndne_f32_e32 v42, v33
	v_fmac_f32_e32 v37, 0x32a5705f, v32
	v_sub_f32_e32 v33, v33, v42
	v_add_f32_e32 v33, v33, v37
	v_exp_f32_e32 v33, v33
	v_cvt_i32_f32_e32 v37, v42
	v_cndmask_b32_e64 v34, v35, v219, s[10:11]
	v_cmp_ngt_f32_e32 vcc, s49, v32
	v_max3_f32 v39, v39, v40, v41
	v_ldexp_f32 v33, v33, v37
	v_sub_f32_e32 v37, v34, v180
	v_cndmask_b32_e32 v33, 0, v33, vcc
	v_cmp_nlt_f32_e32 vcc, s50, v32
	v_mul_f32_e32 v32, 0x3fb8aa3b, v37
	v_rndne_f32_e32 v34, v32
	v_cndmask_b32_e32 v38, v209, v33, vcc
	v_fma_f32 v33, v37, s31, -v32
	v_fmac_f32_e32 v33, 0x32a5705f, v37
	v_sub_f32_e32 v32, v32, v34
	ds_bpermute_b32 v47, v199, v39
	v_add_f32_e32 v32, v32, v33
	v_exp_f32_e32 v45, v32
	v_lshl_add_u64 v[32:33], s[40:41], 0, v[104:105]
	v_cvt_i32_f32_e32 v46, v34
	v_mad_u64_u32 v[34:35], s[12:13], v174, 24, v[32:33]
	v_lshl_add_u64 v[40:41], v[34:35], 0, v[106:107]
	v_mad_u64_u32 v[32:33], s[12:13], v172, 24, v[32:33]
	v_lshl_add_u64 v[42:43], v[32:33], 0, v[108:109]
	global_load_dword v184, v[40:41], off offset:8
	global_load_dword v93, v[42:43], off offset:8
	global_load_dwordx2 v[48:49], v[32:33], off
	global_load_dwordx2 v[50:51], v[34:35], off
	s_waitcnt lgkmcnt(0)
	v_max_f32_e32 v33, v47, v47
	v_max_f32_e32 v33, v39, v33
	ds_bpermute_b32 v34, v200, v33
	v_ldexp_f32 v32, v45, v46
	v_cmp_ngt_f32_e32 vcc, s49, v37
	v_cvt_f16_f32_e32 v35, v38
	s_add_i32 s22, s38, s22
	s_waitcnt lgkmcnt(0)
	v_max_f32_e32 v34, v34, v34
	v_cndmask_b32_e32 v32, 0, v32, vcc
	v_cmp_nlt_f32_e32 vcc, s50, v37
	v_max_f32_e32 v37, v33, v34
	ds_bpermute_b32 v39, v201, v37
	v_cndmask_b32_e32 v178, v209, v32, vcc
	v_cvt_f16_f32_e32 v32, v178
	v_mul_u32_u24_e32 v40, 0x10001, v35
	s_add_u32 s42, s42, s4
	s_waitcnt lgkmcnt(0)
	v_max_f32_e32 v39, v39, v39
	v_max_f32_e32 v181, v37, v39
	v_sub_f32_e32 v36, v36, v181
	v_mul_f32_e32 v37, 0x3fb8aa3b, v36
	ds_write_b16 v193, v32
	v_fma_f32 v39, v36, s31, -v37
	v_rndne_f32_e32 v41, v37
	ds_read_b128 v[32:35], v195
	ds_read_b128 v[212:215], v195 offset:16
	v_fmac_f32_e32 v39, 0x32a5705f, v36
	v_sub_f32_e32 v37, v37, v41
	v_add_f32_e32 v37, v37, v39
	v_exp_f32_e32 v37, v37
	v_cvt_i32_f32_e32 v39, v41
	s_waitcnt lgkmcnt(1)
	v_pk_mul_f16 v185, v33, v40
	v_sub_f32_e32 v33, v44, v181
	v_pk_mul_f16 v182, v34, v40
	v_mul_f32_e32 v34, 0x3fb8aa3b, v33
	v_pk_mul_f16 v186, v32, v40
	v_ldexp_f32 v32, v37, v39
	v_fma_f32 v37, v33, s31, -v34
	v_rndne_f32_e32 v39, v34
	v_fmac_f32_e32 v37, 0x32a5705f, v33
	v_sub_f32_e32 v34, v34, v39
	v_add_f32_e32 v34, v34, v37
	v_exp_f32_e32 v34, v34
	v_cvt_i32_f32_e32 v37, v39
	v_cmp_ngt_f32_e32 vcc, s49, v36
	v_pk_mul_f16 v183, v35, v40
	s_addc_u32 s43, s43, 0
	v_cndmask_b32_e32 v32, 0, v32, vcc
	v_cmp_nlt_f32_e32 vcc, s50, v36
	s_waitcnt vmcnt(3)
	v_ashrrev_i32_e32 v184, v205, v184
	v_cndmask_b32_e32 v39, v209, v32, vcc
	v_ldexp_f32 v32, v34, v37
	v_cmp_ngt_f32_e32 vcc, s49, v33
	v_and_b32_e32 v184, 0xf0f0f0f, v184
	s_waitcnt vmcnt(0)
	v_lshrrev_b32_e32 v217, v207, v51
	v_cndmask_b32_e32 v32, 0, v32, vcc
	v_cmp_nlt_f32_e32 vcc, s50, v33
	v_cvt_f16_f32_e32 v33, v39
	v_lshlrev_b32_e32 v217, 20, v217
	v_cndmask_b32_e32 v179, v209, v32, vcc
	v_cvt_f16_f32_e32 v32, v179
	v_mul_u32_u24_e32 v216, 0x10001, v33
	v_pk_fma_f32 v[56:57], v[56:57], v[38:39], v[178:179]
	s_waitcnt lgkmcnt(0)
	v_pk_mul_f16 v188, v212, v216
	ds_write_b16 v193, v32 offset:256
	v_lshl_add_u64 v[32:33], s[40:41], 0, v[110:111]
	v_mad_u64_u32 v[34:35], s[12:13], v174, 24, v[32:33]
	v_lshl_add_u64 v[36:37], v[34:35], 0, v[106:107]
	v_mad_u64_u32 v[32:33], s[12:13], v172, 24, v[32:33]
	v_lshl_add_u64 v[38:39], v[32:33], 0, v[108:109]
	global_load_dword v211, v[36:37], off offset:8
	global_load_dword v189, v[38:39], off offset:8
	global_load_dwordx2 v[52:53], v[32:33], off
	global_load_dwordx2 v[54:55], v[34:35], off
	v_pk_mul_f16 v187, v213, v216
	v_pk_mul_f16 v212, v214, v216
	;; [unrolled: 1-line block ×3, first 2 shown]
	v_lshrrev_b32_e32 v216, v204, v51
	v_lshlrev_b32_e32 v216, 4, v216
	v_and_or_b32 v184, v216, 16, v184
	v_lshrrev_b32_e32 v216, v206, v51
	v_lshrrev_b32_e32 v51, v208, v51
	v_lshlrev_b32_e32 v216, 12, v216
	v_lshlrev_b32_e32 v51, 28, v51
	v_and_or_b32 v216, v216, s30, v184
	v_and_b32_e32 v217, 0x100000, v217
	v_and_b32_e32 v51, 0x10000000, v51
	v_or3_b32 v51, v217, v51, v216
	v_lshrrev_b32_e32 v216, 8, v216
	ds_read_b128 v[40:43], v202
	ds_read_b128 v[32:35], v202 offset:16
	ds_read_b128 v[44:47], v202 offset:256
	;; [unrolled: 1-line block ×3, first 2 shown]
	v_and_b32_e32 v184, 31, v184
	v_and_b32_e32 v216, 31, v216
	v_cvt_f16_u16_e32 v184, v184
	v_cvt_f16_u16_e32 v216, v216
	v_pack_b32_f16 v184, v184, v216
	v_and_b32_sdwa v216, v51, v210 dst_sel:DWORD dst_unused:UNUSED_PAD src0_sel:WORD_1 src1_sel:DWORD
	v_cvt_f16_u16_sdwa v51, v51 dst_sel:DWORD dst_unused:UNUSED_PAD src0_sel:BYTE_3
	v_cvt_f16_u16_e32 v216, v216
	v_mul_u32_u24_sdwa v217, v50, s51 dst_sel:DWORD dst_unused:UNUSED_PAD src0_sel:WORD_0 src1_sel:DWORD
	v_mul_u32_u24_sdwa v50, v50, s51 dst_sel:DWORD dst_unused:UNUSED_PAD src0_sel:WORD_1 src1_sel:DWORD
	v_pack_b32_f16 v51, v216, v51
	s_waitcnt lgkmcnt(3)
	v_mul_u32_u24_sdwa v214, v40, s51 dst_sel:DWORD dst_unused:UNUSED_PAD src0_sel:WORD_0 src1_sel:DWORD
	s_waitcnt lgkmcnt(1)
	v_mul_u32_u24_sdwa v215, v44, s51 dst_sel:DWORD dst_unused:UNUSED_PAD src0_sel:WORD_0 src1_sel:DWORD
	v_pk_fma_f16 v184, v184, v217, v50
	v_pk_fma_f16 v50, v51, v217, v50
	;; [unrolled: 1-line block ×6, first 2 shown]
	v_ashrrev_i32_e32 v50, v205, v93
	v_lshrrev_b32_e32 v51, v204, v49
	v_and_b32_e32 v50, 0xf0f0f0f, v50
	v_lshlrev_b32_e32 v51, 4, v51
	v_and_or_b32 v50, v51, 16, v50
	v_lshrrev_b32_e32 v51, v206, v49
	v_lshrrev_b32_e32 v93, v207, v49
	;; [unrolled: 1-line block ×3, first 2 shown]
	v_lshlrev_b32_e32 v51, 12, v51
	v_lshlrev_b32_e32 v93, 20, v93
	;; [unrolled: 1-line block ×3, first 2 shown]
	v_and_or_b32 v51, v51, s30, v50
	v_and_b32_e32 v93, 0x100000, v93
	v_and_b32_e32 v49, 0x10000000, v49
	v_or3_b32 v49, v93, v49, v51
	v_lshrrev_b32_e32 v51, 8, v51
	v_and_b32_e32 v50, 31, v50
	v_and_b32_e32 v51, 31, v51
	v_cvt_f16_u16_e32 v50, v50
	v_cvt_f16_u16_e32 v51, v51
	v_pack_b32_f16 v50, v50, v51
	v_and_b32_sdwa v51, v49, v210 dst_sel:DWORD dst_unused:UNUSED_PAD src0_sel:WORD_1 src1_sel:DWORD
	v_cvt_f16_u16_sdwa v49, v49 dst_sel:DWORD dst_unused:UNUSED_PAD src0_sel:BYTE_3
	v_cvt_f16_u16_e32 v51, v51
	v_mul_u32_u24_sdwa v93, v48, s51 dst_sel:DWORD dst_unused:UNUSED_PAD src0_sel:WORD_0 src1_sel:DWORD
	v_mul_u32_u24_sdwa v48, v48, s51 dst_sel:DWORD dst_unused:UNUSED_PAD src0_sel:WORD_1 src1_sel:DWORD
	v_pack_b32_f16 v49, v51, v49
	v_pk_fma_f16 v50, v50, v93, v48
	v_pk_fma_f16 v48, v49, v93, v48
	;; [unrolled: 1-line block ×6, first 2 shown]
	ds_write_b128 v195, v[184:187] offset:16
	v_mul_u32_u24_sdwa v40, v40, s51 dst_sel:DWORD dst_unused:UNUSED_PAD src0_sel:WORD_1 src1_sel:DWORD
	v_mul_u32_u24_sdwa v44, v44, s51 dst_sel:DWORD dst_unused:UNUSED_PAD src0_sel:WORD_1 src1_sel:DWORD
	s_waitcnt vmcnt(3)
	v_ashrrev_i32_e32 v48, v205, v211
	v_and_b32_e32 v211, 0xf0f0f0f, v48
	s_waitcnt vmcnt(0)
	v_lshrrev_b32_e32 v48, v204, v55
	v_lshlrev_b32_e32 v217, 4, v48
	v_lshl_add_u64 v[48:49], s[40:41], 0, v[112:113]
	v_mad_u64_u32 v[50:51], s[12:13], v174, 24, v[48:49]
	v_mad_u64_u32 v[48:49], s[12:13], v172, 24, v[48:49]
	v_lshl_add_u64 v[182:183], v[50:51], 0, v[106:107]
	v_lshl_add_u64 v[212:213], v[48:49], 0, v[108:109]
	global_load_dword v219, v[182:183], off offset:8
	global_load_dword v220, v[212:213], off offset:8
	s_nop 0
	global_load_dwordx2 v[212:213], v[48:49], off
	global_load_dwordx2 v[214:215], v[50:51], off
	v_lshrrev_b32_e32 v49, v206, v55
	v_lshrrev_b32_e32 v50, v207, v55
	;; [unrolled: 1-line block ×3, first 2 shown]
	v_and_or_b32 v48, v217, 16, v211
	v_lshlrev_b32_e32 v49, 12, v49
	v_lshlrev_b32_e32 v50, 20, v50
	v_lshlrev_b32_e32 v51, 28, v51
	v_and_or_b32 v49, v49, s30, v48
	v_and_b32_e32 v50, 0x100000, v50
	v_and_b32_e32 v51, 0x10000000, v51
	v_or3_b32 v50, v50, v51, v49
	v_lshrrev_b32_e32 v49, 8, v49
	v_and_b32_e32 v48, 31, v48
	v_and_b32_e32 v49, 31, v49
	v_cvt_f16_u16_e32 v48, v48
	v_cvt_f16_u16_e32 v49, v49
	v_mul_u32_u24_sdwa v51, v54, s51 dst_sel:DWORD dst_unused:UNUSED_PAD src0_sel:WORD_0 src1_sel:DWORD
	v_mul_u32_u24_sdwa v54, v54, s51 dst_sel:DWORD dst_unused:UNUSED_PAD src0_sel:WORD_1 src1_sel:DWORD
	v_pack_b32_f16 v48, v48, v49
	v_pk_fma_f16 v49, v48, v51, v54
	v_and_b32_sdwa v48, v50, v210 dst_sel:DWORD dst_unused:UNUSED_PAD src0_sel:WORD_1 src1_sel:DWORD
	v_cvt_f16_u16_sdwa v50, v50 dst_sel:DWORD dst_unused:UNUSED_PAD src0_sel:BYTE_3
	v_cvt_f16_u16_e32 v48, v48
	v_pack_b32_f16 v48, v48, v50
	v_pk_fma_f16 v50, v48, v51, v54
	v_pk_fma_f16 v48, v49, v40, v216
	;; [unrolled: 1-line block ×5, first 2 shown]
	v_ashrrev_i32_e32 v50, v205, v189
	v_lshrrev_b32_e32 v51, v204, v53
	v_and_b32_e32 v50, 0xf0f0f0f, v50
	v_lshlrev_b32_e32 v51, 4, v51
	v_and_or_b32 v50, v51, 16, v50
	v_lshrrev_b32_e32 v51, v206, v53
	v_lshrrev_b32_e32 v54, v207, v53
	;; [unrolled: 1-line block ×3, first 2 shown]
	v_lshlrev_b32_e32 v51, 12, v51
	v_lshlrev_b32_e32 v54, 20, v54
	;; [unrolled: 1-line block ×3, first 2 shown]
	v_and_or_b32 v51, v51, s30, v50
	v_and_b32_e32 v54, 0x100000, v54
	v_and_b32_e32 v53, 0x10000000, v53
	v_or3_b32 v53, v54, v53, v51
	v_lshrrev_b32_e32 v51, 8, v51
	v_and_b32_e32 v50, 31, v50
	v_and_b32_e32 v51, 31, v51
	v_cvt_f16_u16_e32 v50, v50
	v_cvt_f16_u16_e32 v51, v51
	v_mul_u32_u24_sdwa v54, v52, s51 dst_sel:DWORD dst_unused:UNUSED_PAD src0_sel:WORD_0 src1_sel:DWORD
	v_mul_u32_u24_sdwa v52, v52, s51 dst_sel:DWORD dst_unused:UNUSED_PAD src0_sel:WORD_1 src1_sel:DWORD
	v_pack_b32_f16 v50, v50, v51
	v_pk_fma_f16 v51, v50, v54, v52
	v_and_b32_sdwa v50, v53, v210 dst_sel:DWORD dst_unused:UNUSED_PAD src0_sel:WORD_1 src1_sel:DWORD
	v_cvt_f16_u16_sdwa v53, v53 dst_sel:DWORD dst_unused:UNUSED_PAD src0_sel:BYTE_3
	v_cvt_f16_u16_e32 v50, v50
	v_pack_b32_f16 v50, v50, v53
	v_pk_fma_f16 v211, v50, v54, v52
	v_lshl_add_u64 v[52:53], s[40:41], 0, v[114:115]
	v_mad_u64_u32 v[54:55], s[12:13], v174, 24, v[52:53]
	v_mad_u64_u32 v[52:53], s[12:13], v172, 24, v[52:53]
	v_lshl_add_u64 v[184:185], v[54:55], 0, v[106:107]
	v_lshl_add_u64 v[188:189], v[52:53], 0, v[108:109]
	v_pk_fma_f16 v50, v51, v40, v93
	global_load_dword v93, v[184:185], off offset:8
	global_load_dword v221, v[188:189], off offset:8
	s_nop 0
	global_load_dwordx2 v[188:189], v[52:53], off
	global_load_dwordx2 v[216:217], v[54:55], off
	v_pk_fma_f16 v184, v51, v44, v186
	v_pk_fma_f16 v51, v211, v40, v218
	;; [unrolled: 1-line block ×3, first 2 shown]
	v_mul_u32_u24_sdwa v40, v41, s51 dst_sel:DWORD dst_unused:UNUSED_PAD src0_sel:WORD_0 src1_sel:DWORD
	v_mul_u32_u24_sdwa v44, v45, s51 dst_sel:DWORD dst_unused:UNUSED_PAD src0_sel:WORD_0 src1_sel:DWORD
	ds_write_b128 v195, v[48:51]
	ds_write_b128 v195, v[182:185] offset:16
	v_mul_u32_u24_sdwa v211, v41, s51 dst_sel:DWORD dst_unused:UNUSED_PAD src0_sel:WORD_1 src1_sel:DWORD
	s_waitcnt vmcnt(7)
	v_ashrrev_i32_e32 v52, v205, v219
	v_and_b32_e32 v52, 0xf0f0f0f, v52
	s_waitcnt vmcnt(4)
	v_lshrrev_b32_e32 v53, v204, v215
	v_lshlrev_b32_e32 v53, 4, v53
	v_and_or_b32 v52, v53, 16, v52
	v_lshrrev_b32_e32 v53, v206, v215
	v_lshrrev_b32_e32 v54, v207, v215
	;; [unrolled: 1-line block ×3, first 2 shown]
	v_lshlrev_b32_e32 v53, 12, v53
	v_lshlrev_b32_e32 v54, 20, v54
	;; [unrolled: 1-line block ×3, first 2 shown]
	v_and_or_b32 v53, v53, s30, v52
	v_and_b32_e32 v54, 0x100000, v54
	v_and_b32_e32 v55, 0x10000000, v55
	v_or3_b32 v54, v54, v55, v53
	v_lshrrev_b32_e32 v53, 8, v53
	v_and_b32_e32 v52, 31, v52
	v_and_b32_e32 v53, 31, v53
	v_cvt_f16_u16_e32 v52, v52
	v_cvt_f16_u16_e32 v53, v53
	v_pack_b32_f16 v52, v52, v53
	v_and_b32_sdwa v53, v54, v210 dst_sel:DWORD dst_unused:UNUSED_PAD src0_sel:WORD_1 src1_sel:DWORD
	v_cvt_f16_u16_sdwa v54, v54 dst_sel:DWORD dst_unused:UNUSED_PAD src0_sel:BYTE_3
	v_cvt_f16_u16_e32 v53, v53
	v_mul_u32_u24_sdwa v55, v214, s51 dst_sel:DWORD dst_unused:UNUSED_PAD src0_sel:WORD_0 src1_sel:DWORD
	v_mul_u32_u24_sdwa v186, v214, s51 dst_sel:DWORD dst_unused:UNUSED_PAD src0_sel:WORD_1 src1_sel:DWORD
	v_pack_b32_f16 v53, v53, v54
	v_pk_fma_f16 v52, v52, v55, v186
	v_pk_fma_f16 v53, v53, v55, v186
	v_ashrrev_i32_e32 v54, v205, v220
	v_lshrrev_b32_e32 v55, v204, v213
	v_and_b32_e32 v54, 0xf0f0f0f, v54
	v_lshlrev_b32_e32 v55, 4, v55
	v_pk_fma_f16 v48, v52, v40, v48
	v_pk_fma_f16 v52, v52, v44, v182
	;; [unrolled: 1-line block ×4, first 2 shown]
	v_and_or_b32 v54, v55, 16, v54
	v_lshrrev_b32_e32 v55, v206, v213
	v_lshrrev_b32_e32 v182, v207, v213
	;; [unrolled: 1-line block ×3, first 2 shown]
	v_lshlrev_b32_e32 v55, 12, v55
	v_lshlrev_b32_e32 v182, 20, v182
	;; [unrolled: 1-line block ×3, first 2 shown]
	v_and_or_b32 v55, v55, s30, v54
	v_and_b32_e32 v182, 0x100000, v182
	v_and_b32_e32 v183, 0x10000000, v183
	v_or3_b32 v182, v182, v183, v55
	v_lshrrev_b32_e32 v55, 8, v55
	v_and_b32_e32 v54, 31, v54
	v_and_b32_e32 v55, 31, v55
	v_cvt_f16_u16_e32 v54, v54
	v_cvt_f16_u16_e32 v55, v55
	v_pack_b32_f16 v54, v54, v55
	v_and_b32_sdwa v55, v182, v210 dst_sel:DWORD dst_unused:UNUSED_PAD src0_sel:WORD_1 src1_sel:DWORD
	v_cvt_f16_u16_sdwa v182, v182 dst_sel:DWORD dst_unused:UNUSED_PAD src0_sel:BYTE_3
	v_cvt_f16_u16_e32 v55, v55
	v_mul_u32_u24_sdwa v183, v212, s51 dst_sel:DWORD dst_unused:UNUSED_PAD src0_sel:WORD_0 src1_sel:DWORD
	v_mul_u32_u24_sdwa v186, v212, s51 dst_sel:DWORD dst_unused:UNUSED_PAD src0_sel:WORD_1 src1_sel:DWORD
	v_pack_b32_f16 v55, v55, v182
	v_pk_fma_f16 v54, v54, v183, v186
	v_pk_fma_f16 v55, v55, v183, v186
	;; [unrolled: 1-line block ×6, first 2 shown]
	s_waitcnt vmcnt(3)
	v_ashrrev_i32_e32 v40, v205, v93
	v_and_b32_e32 v93, 0xf0f0f0f, v40
	v_mul_u32_u24_sdwa v212, v45, s51 dst_sel:DWORD dst_unused:UNUSED_PAD src0_sel:WORD_1 src1_sel:DWORD
	s_waitcnt vmcnt(0)
	v_lshrrev_b32_e32 v40, v204, v217
	v_lshlrev_b32_e32 v186, 4, v40
	v_lshl_add_u64 v[40:41], s[40:41], 0, v[116:117]
	v_mad_u64_u32 v[44:45], s[12:13], v174, 24, v[40:41]
	ds_write_b128 v195, v[48:51]
	ds_write_b128 v195, v[52:55] offset:16
	v_lshl_add_u64 v[182:183], v[44:45], 0, v[106:107]
	v_mad_u64_u32 v[40:41], s[12:13], v172, 24, v[40:41]
	v_lshl_add_u64 v[184:185], v[40:41], 0, v[108:109]
	global_load_dword v213, v[182:183], off offset:8
	global_load_dword v214, v[184:185], off offset:8
	s_nop 0
	global_load_dwordx2 v[40:41], v[40:41], off
	s_nop 0
	global_load_dwordx2 v[44:45], v[44:45], off
	v_lshrrev_b32_e32 v182, v206, v217
	v_lshrrev_b32_e32 v183, v207, v217
	;; [unrolled: 1-line block ×3, first 2 shown]
	v_and_or_b32 v93, v186, 16, v93
	v_lshlrev_b32_e32 v182, 12, v182
	v_lshlrev_b32_e32 v183, 20, v183
	;; [unrolled: 1-line block ×3, first 2 shown]
	v_and_or_b32 v182, v182, s30, v93
	v_and_b32_e32 v183, 0x100000, v183
	v_and_b32_e32 v184, 0x10000000, v184
	v_or3_b32 v183, v183, v184, v182
	v_lshrrev_b32_e32 v182, 8, v182
	v_and_b32_e32 v93, 31, v93
	v_and_b32_e32 v182, 31, v182
	v_cvt_f16_u16_e32 v93, v93
	v_cvt_f16_u16_e32 v182, v182
	v_pack_b32_f16 v93, v93, v182
	v_and_b32_sdwa v182, v183, v210 dst_sel:DWORD dst_unused:UNUSED_PAD src0_sel:WORD_1 src1_sel:DWORD
	v_cvt_f16_u16_sdwa v183, v183 dst_sel:DWORD dst_unused:UNUSED_PAD src0_sel:BYTE_3
	v_cvt_f16_u16_e32 v182, v182
	v_mul_u32_u24_sdwa v184, v216, s51 dst_sel:DWORD dst_unused:UNUSED_PAD src0_sel:WORD_0 src1_sel:DWORD
	v_mul_u32_u24_sdwa v185, v216, s51 dst_sel:DWORD dst_unused:UNUSED_PAD src0_sel:WORD_1 src1_sel:DWORD
	v_pack_b32_f16 v182, v182, v183
	v_pk_fma_f16 v93, v93, v184, v185
	v_pk_fma_f16 v182, v182, v184, v185
	;; [unrolled: 1-line block ×6, first 2 shown]
	v_ashrrev_i32_e32 v93, v205, v221
	v_lshrrev_b32_e32 v182, v204, v189
	v_and_b32_e32 v93, 0xf0f0f0f, v93
	v_lshlrev_b32_e32 v182, 4, v182
	v_and_or_b32 v93, v182, 16, v93
	v_lshrrev_b32_e32 v182, v206, v189
	v_lshrrev_b32_e32 v183, v207, v189
	;; [unrolled: 1-line block ×3, first 2 shown]
	v_lshlrev_b32_e32 v182, 12, v182
	v_lshlrev_b32_e32 v183, 20, v183
	;; [unrolled: 1-line block ×3, first 2 shown]
	v_and_or_b32 v182, v182, s30, v93
	v_and_b32_e32 v183, 0x100000, v183
	v_and_b32_e32 v184, 0x10000000, v184
	v_or3_b32 v183, v183, v184, v182
	v_lshrrev_b32_e32 v182, 8, v182
	v_and_b32_e32 v93, 31, v93
	v_and_b32_e32 v182, 31, v182
	v_cvt_f16_u16_e32 v93, v93
	v_cvt_f16_u16_e32 v182, v182
	v_pack_b32_f16 v93, v93, v182
	v_and_b32_sdwa v182, v183, v210 dst_sel:DWORD dst_unused:UNUSED_PAD src0_sel:WORD_1 src1_sel:DWORD
	v_cvt_f16_u16_sdwa v183, v183 dst_sel:DWORD dst_unused:UNUSED_PAD src0_sel:BYTE_3
	v_cvt_f16_u16_e32 v182, v182
	v_mul_u32_u24_sdwa v184, v188, s51 dst_sel:DWORD dst_unused:UNUSED_PAD src0_sel:WORD_0 src1_sel:DWORD
	v_mul_u32_u24_sdwa v185, v188, s51 dst_sel:DWORD dst_unused:UNUSED_PAD src0_sel:WORD_1 src1_sel:DWORD
	v_pack_b32_f16 v182, v182, v183
	v_pk_fma_f16 v215, v182, v184, v185
	v_lshl_add_u64 v[182:183], s[40:41], 0, v[118:119]
	v_pk_fma_f16 v93, v93, v184, v185
	v_mad_u64_u32 v[184:185], s[12:13], v174, 24, v[182:183]
	v_lshl_add_u64 v[186:187], v[184:185], 0, v[106:107]
	v_mad_u64_u32 v[182:183], s[12:13], v172, 24, v[182:183]
	v_lshl_add_u64 v[188:189], v[182:183], 0, v[108:109]
	global_load_dword v186, v[186:187], off offset:8
	s_nop 0
	global_load_dword v216, v[188:189], off offset:8
	s_nop 0
	global_load_dwordx2 v[182:183], v[182:183], off
	s_nop 0
	global_load_dwordx2 v[184:185], v[184:185], off
	v_pk_fma_f16 v50, v93, v211, v50
	v_pk_fma_f16 v51, v215, v211, v51
	;; [unrolled: 1-line block ×4, first 2 shown]
	v_mul_u32_u24_sdwa v93, v42, s51 dst_sel:DWORD dst_unused:UNUSED_PAD src0_sel:WORD_0 src1_sel:DWORD
	v_mul_u32_u24_sdwa v187, v46, s51 dst_sel:DWORD dst_unused:UNUSED_PAD src0_sel:WORD_0 src1_sel:DWORD
	ds_write_b128 v195, v[48:51]
	ds_write_b128 v195, v[52:55] offset:16
	v_mul_u32_u24_sdwa v42, v42, s51 dst_sel:DWORD dst_unused:UNUSED_PAD src0_sel:WORD_1 src1_sel:DWORD
	v_mul_u32_u24_sdwa v46, v46, s51 dst_sel:DWORD dst_unused:UNUSED_PAD src0_sel:WORD_1 src1_sel:DWORD
	s_waitcnt vmcnt(7)
	v_ashrrev_i32_e32 v188, v205, v213
	v_and_b32_e32 v188, 0xf0f0f0f, v188
	s_waitcnt vmcnt(4)
	v_lshrrev_b32_e32 v189, v204, v45
	v_lshlrev_b32_e32 v189, 4, v189
	v_and_or_b32 v188, v189, 16, v188
	v_lshrrev_b32_e32 v189, v206, v45
	v_lshrrev_b32_e32 v211, v207, v45
	v_lshrrev_b32_e32 v45, v208, v45
	v_lshlrev_b32_e32 v189, 12, v189
	v_lshlrev_b32_e32 v211, 20, v211
	v_lshlrev_b32_e32 v45, 28, v45
	v_and_or_b32 v189, v189, s30, v188
	v_and_b32_e32 v211, 0x100000, v211
	v_and_b32_e32 v45, 0x10000000, v45
	v_or3_b32 v45, v211, v45, v189
	v_lshrrev_b32_e32 v189, 8, v189
	v_and_b32_e32 v188, 31, v188
	v_and_b32_e32 v189, 31, v189
	v_cvt_f16_u16_e32 v188, v188
	v_cvt_f16_u16_e32 v189, v189
	v_pack_b32_f16 v188, v188, v189
	v_and_b32_sdwa v189, v45, v210 dst_sel:DWORD dst_unused:UNUSED_PAD src0_sel:WORD_1 src1_sel:DWORD
	v_cvt_f16_u16_sdwa v45, v45 dst_sel:DWORD dst_unused:UNUSED_PAD src0_sel:BYTE_3
	v_cvt_f16_u16_e32 v189, v189
	v_mul_u32_u24_sdwa v211, v44, s51 dst_sel:DWORD dst_unused:UNUSED_PAD src0_sel:WORD_0 src1_sel:DWORD
	v_mul_u32_u24_sdwa v44, v44, s51 dst_sel:DWORD dst_unused:UNUSED_PAD src0_sel:WORD_1 src1_sel:DWORD
	v_pack_b32_f16 v45, v189, v45
	v_pk_fma_f16 v188, v188, v211, v44
	v_pk_fma_f16 v44, v45, v211, v44
	v_lshrrev_b32_e32 v45, v204, v41
	v_pk_fma_f16 v49, v44, v93, v49
	v_pk_fma_f16 v53, v44, v187, v53
	v_ashrrev_i32_e32 v44, v205, v214
	v_and_b32_e32 v44, 0xf0f0f0f, v44
	v_lshlrev_b32_e32 v45, 4, v45
	v_pk_fma_f16 v48, v188, v93, v48
	v_pk_fma_f16 v52, v188, v187, v52
	v_and_or_b32 v44, v45, 16, v44
	v_lshrrev_b32_e32 v45, v206, v41
	v_lshrrev_b32_e32 v188, v207, v41
	v_lshrrev_b32_e32 v41, v208, v41
	v_lshlrev_b32_e32 v45, 12, v45
	v_lshlrev_b32_e32 v188, 20, v188
	;; [unrolled: 1-line block ×3, first 2 shown]
	v_and_or_b32 v45, v45, s30, v44
	v_and_b32_e32 v188, 0x100000, v188
	v_and_b32_e32 v41, 0x10000000, v41
	v_or3_b32 v41, v188, v41, v45
	v_lshrrev_b32_e32 v45, 8, v45
	v_and_b32_e32 v44, 31, v44
	v_and_b32_e32 v45, 31, v45
	v_cvt_f16_u16_e32 v44, v44
	v_cvt_f16_u16_e32 v45, v45
	v_pack_b32_f16 v44, v44, v45
	v_and_b32_sdwa v45, v41, v210 dst_sel:DWORD dst_unused:UNUSED_PAD src0_sel:WORD_1 src1_sel:DWORD
	v_cvt_f16_u16_sdwa v41, v41 dst_sel:DWORD dst_unused:UNUSED_PAD src0_sel:BYTE_3
	v_cvt_f16_u16_e32 v45, v45
	v_mul_u32_u24_sdwa v188, v40, s51 dst_sel:DWORD dst_unused:UNUSED_PAD src0_sel:WORD_0 src1_sel:DWORD
	v_mul_u32_u24_sdwa v40, v40, s51 dst_sel:DWORD dst_unused:UNUSED_PAD src0_sel:WORD_1 src1_sel:DWORD
	v_pack_b32_f16 v41, v45, v41
	v_pk_fma_f16 v44, v44, v188, v40
	v_pk_fma_f16 v40, v41, v188, v40
	;; [unrolled: 1-line block ×5, first 2 shown]
	s_waitcnt vmcnt(3)
	v_ashrrev_i32_e32 v40, v205, v186
	v_and_b32_e32 v93, 0xf0f0f0f, v40
	v_pk_fma_f16 v54, v44, v187, v54
	s_waitcnt vmcnt(0)
	v_lshrrev_b32_e32 v40, v204, v185
	v_lshlrev_b32_e32 v211, 4, v40
	v_lshl_add_u64 v[40:41], s[40:41], 0, v[120:121]
	v_mad_u64_u32 v[44:45], s[12:13], v174, 24, v[40:41]
	ds_write_b128 v195, v[48:51]
	ds_write_b128 v195, v[52:55] offset:16
	v_lshl_add_u64 v[186:187], v[44:45], 0, v[106:107]
	v_mad_u64_u32 v[40:41], s[12:13], v172, 24, v[40:41]
	v_lshl_add_u64 v[188:189], v[40:41], 0, v[108:109]
	global_load_dword v212, v[186:187], off offset:8
	global_load_dword v213, v[188:189], off offset:8
	s_nop 0
	global_load_dwordx2 v[40:41], v[40:41], off
	s_nop 0
	global_load_dwordx2 v[44:45], v[44:45], off
	v_lshrrev_b32_e32 v186, v206, v185
	v_lshrrev_b32_e32 v187, v207, v185
	;; [unrolled: 1-line block ×3, first 2 shown]
	v_and_or_b32 v93, v211, 16, v93
	v_lshlrev_b32_e32 v186, 12, v186
	v_lshlrev_b32_e32 v187, 20, v187
	;; [unrolled: 1-line block ×3, first 2 shown]
	v_and_or_b32 v186, v186, s30, v93
	v_and_b32_e32 v187, 0x100000, v187
	v_and_b32_e32 v185, 0x10000000, v185
	v_or3_b32 v185, v187, v185, v186
	v_lshrrev_b32_e32 v186, 8, v186
	v_and_b32_e32 v93, 31, v93
	v_and_b32_e32 v186, 31, v186
	v_cvt_f16_u16_e32 v93, v93
	v_cvt_f16_u16_e32 v186, v186
	v_pack_b32_f16 v93, v93, v186
	v_and_b32_sdwa v186, v185, v210 dst_sel:DWORD dst_unused:UNUSED_PAD src0_sel:WORD_1 src1_sel:DWORD
	v_cvt_f16_u16_sdwa v185, v185 dst_sel:DWORD dst_unused:UNUSED_PAD src0_sel:BYTE_3
	v_cvt_f16_u16_e32 v186, v186
	v_mul_u32_u24_sdwa v187, v184, s51 dst_sel:DWORD dst_unused:UNUSED_PAD src0_sel:WORD_0 src1_sel:DWORD
	v_mul_u32_u24_sdwa v184, v184, s51 dst_sel:DWORD dst_unused:UNUSED_PAD src0_sel:WORD_1 src1_sel:DWORD
	v_pack_b32_f16 v185, v186, v185
	v_pk_fma_f16 v93, v93, v187, v184
	v_pk_fma_f16 v184, v185, v187, v184
	;; [unrolled: 1-line block ×6, first 2 shown]
	v_ashrrev_i32_e32 v93, v205, v216
	v_lshrrev_b32_e32 v184, v204, v183
	v_and_b32_e32 v93, 0xf0f0f0f, v93
	v_lshlrev_b32_e32 v184, 4, v184
	v_and_or_b32 v93, v184, 16, v93
	v_lshrrev_b32_e32 v184, v206, v183
	v_lshrrev_b32_e32 v185, v207, v183
	;; [unrolled: 1-line block ×3, first 2 shown]
	v_lshlrev_b32_e32 v184, 12, v184
	v_lshlrev_b32_e32 v185, 20, v185
	;; [unrolled: 1-line block ×3, first 2 shown]
	v_and_or_b32 v184, v184, s30, v93
	v_and_b32_e32 v185, 0x100000, v185
	v_and_b32_e32 v183, 0x10000000, v183
	v_or3_b32 v183, v185, v183, v184
	v_lshrrev_b32_e32 v184, 8, v184
	v_and_b32_e32 v93, 31, v93
	v_and_b32_e32 v184, 31, v184
	v_cvt_f16_u16_e32 v93, v93
	v_cvt_f16_u16_e32 v184, v184
	v_pack_b32_f16 v93, v93, v184
	v_and_b32_sdwa v184, v183, v210 dst_sel:DWORD dst_unused:UNUSED_PAD src0_sel:WORD_1 src1_sel:DWORD
	v_cvt_f16_u16_sdwa v183, v183 dst_sel:DWORD dst_unused:UNUSED_PAD src0_sel:BYTE_3
	v_cvt_f16_u16_e32 v184, v184
	v_mul_u32_u24_sdwa v185, v182, s51 dst_sel:DWORD dst_unused:UNUSED_PAD src0_sel:WORD_0 src1_sel:DWORD
	v_mul_u32_u24_sdwa v182, v182, s51 dst_sel:DWORD dst_unused:UNUSED_PAD src0_sel:WORD_1 src1_sel:DWORD
	v_pack_b32_f16 v183, v184, v183
	v_pk_fma_f16 v93, v93, v185, v182
	v_pk_fma_f16 v211, v183, v185, v182
	v_lshl_add_u64 v[182:183], s[40:41], 0, v[122:123]
	v_mad_u64_u32 v[184:185], s[12:13], v174, 24, v[182:183]
	v_mad_u64_u32 v[182:183], s[12:13], v172, 24, v[182:183]
	v_lshl_add_u64 v[186:187], v[184:185], 0, v[106:107]
	v_lshl_add_u64 v[188:189], v[182:183], 0, v[108:109]
	global_load_dword v186, v[186:187], off offset:8
	s_nop 0
	global_load_dword v188, v[188:189], off offset:8
	s_nop 0
	global_load_dwordx2 v[182:183], v[182:183], off
	s_nop 0
	global_load_dwordx2 v[184:185], v[184:185], off
	v_pk_fma_f16 v50, v93, v42, v50
	v_pk_fma_f16 v54, v93, v46, v54
	;; [unrolled: 1-line block ×4, first 2 shown]
	v_mul_u32_u24_sdwa v42, v43, s51 dst_sel:DWORD dst_unused:UNUSED_PAD src0_sel:WORD_0 src1_sel:DWORD
	v_mul_u32_u24_sdwa v46, v47, s51 dst_sel:DWORD dst_unused:UNUSED_PAD src0_sel:WORD_0 src1_sel:DWORD
	ds_write_b128 v195, v[48:51]
	ds_write_b128 v195, v[52:55] offset:16
	s_waitcnt vmcnt(7)
	v_ashrrev_i32_e32 v93, v205, v212
	v_and_b32_e32 v93, 0xf0f0f0f, v93
	s_waitcnt vmcnt(4)
	v_lshrrev_b32_e32 v187, v204, v45
	v_lshlrev_b32_e32 v187, 4, v187
	v_and_or_b32 v93, v187, 16, v93
	v_lshrrev_b32_e32 v187, v206, v45
	v_lshrrev_b32_e32 v189, v207, v45
	;; [unrolled: 1-line block ×3, first 2 shown]
	v_lshlrev_b32_e32 v187, 12, v187
	v_lshlrev_b32_e32 v189, 20, v189
	;; [unrolled: 1-line block ×3, first 2 shown]
	v_and_or_b32 v187, v187, s30, v93
	v_and_b32_e32 v189, 0x100000, v189
	v_and_b32_e32 v45, 0x10000000, v45
	v_or3_b32 v45, v189, v45, v187
	v_lshrrev_b32_e32 v187, 8, v187
	v_and_b32_e32 v93, 31, v93
	v_and_b32_e32 v187, 31, v187
	v_cvt_f16_u16_e32 v93, v93
	v_cvt_f16_u16_e32 v187, v187
	v_pack_b32_f16 v93, v93, v187
	v_and_b32_sdwa v187, v45, v210 dst_sel:DWORD dst_unused:UNUSED_PAD src0_sel:WORD_1 src1_sel:DWORD
	v_cvt_f16_u16_sdwa v45, v45 dst_sel:DWORD dst_unused:UNUSED_PAD src0_sel:BYTE_3
	v_cvt_f16_u16_e32 v187, v187
	v_mul_u32_u24_sdwa v189, v44, s51 dst_sel:DWORD dst_unused:UNUSED_PAD src0_sel:WORD_0 src1_sel:DWORD
	v_mul_u32_u24_sdwa v44, v44, s51 dst_sel:DWORD dst_unused:UNUSED_PAD src0_sel:WORD_1 src1_sel:DWORD
	v_pack_b32_f16 v45, v187, v45
	v_pk_fma_f16 v93, v93, v189, v44
	v_pk_fma_f16 v44, v45, v189, v44
	v_lshrrev_b32_e32 v45, v204, v41
	v_pk_fma_f16 v49, v44, v42, v49
	v_pk_fma_f16 v53, v44, v46, v53
	v_ashrrev_i32_e32 v44, v205, v213
	v_and_b32_e32 v44, 0xf0f0f0f, v44
	v_lshlrev_b32_e32 v45, 4, v45
	v_pk_fma_f16 v48, v93, v42, v48
	v_pk_fma_f16 v52, v93, v46, v52
	v_and_or_b32 v44, v45, 16, v44
	v_lshrrev_b32_e32 v45, v206, v41
	v_lshrrev_b32_e32 v93, v207, v41
	;; [unrolled: 1-line block ×3, first 2 shown]
	v_lshlrev_b32_e32 v45, 12, v45
	v_lshlrev_b32_e32 v93, 20, v93
	;; [unrolled: 1-line block ×3, first 2 shown]
	v_and_or_b32 v45, v45, s30, v44
	v_and_b32_e32 v93, 0x100000, v93
	v_and_b32_e32 v41, 0x10000000, v41
	v_or3_b32 v41, v93, v41, v45
	v_lshrrev_b32_e32 v45, 8, v45
	v_and_b32_e32 v44, 31, v44
	v_and_b32_e32 v45, 31, v45
	v_cvt_f16_u16_e32 v44, v44
	v_cvt_f16_u16_e32 v45, v45
	v_pack_b32_f16 v44, v44, v45
	v_and_b32_sdwa v45, v41, v210 dst_sel:DWORD dst_unused:UNUSED_PAD src0_sel:WORD_1 src1_sel:DWORD
	v_cvt_f16_u16_sdwa v41, v41 dst_sel:DWORD dst_unused:UNUSED_PAD src0_sel:BYTE_3
	v_cvt_f16_u16_e32 v45, v45
	v_mul_u32_u24_sdwa v93, v40, s51 dst_sel:DWORD dst_unused:UNUSED_PAD src0_sel:WORD_0 src1_sel:DWORD
	v_mul_u32_u24_sdwa v40, v40, s51 dst_sel:DWORD dst_unused:UNUSED_PAD src0_sel:WORD_1 src1_sel:DWORD
	v_pack_b32_f16 v41, v45, v41
	v_pk_fma_f16 v44, v44, v93, v40
	v_pk_fma_f16 v40, v41, v93, v40
	;; [unrolled: 1-line block ×5, first 2 shown]
	s_waitcnt vmcnt(3)
	v_ashrrev_i32_e32 v40, v205, v186
	v_and_b32_e32 v211, 0xf0f0f0f, v40
	v_pk_fma_f16 v54, v44, v46, v54
	s_waitcnt vmcnt(0)
	v_lshrrev_b32_e32 v40, v204, v185
	v_lshlrev_b32_e32 v212, 4, v40
	v_lshl_add_u64 v[40:41], s[40:41], 0, v[124:125]
	v_mul_u32_u24_sdwa v93, v43, s51 dst_sel:DWORD dst_unused:UNUSED_PAD src0_sel:WORD_1 src1_sel:DWORD
	v_mad_u64_u32 v[42:43], s[12:13], v174, 24, v[40:41]
	ds_write_b128 v195, v[48:51]
	ds_write_b128 v195, v[52:55] offset:16
	v_lshl_add_u64 v[44:45], v[42:43], 0, v[106:107]
	v_mad_u64_u32 v[40:41], s[12:13], v172, 24, v[40:41]
	v_mul_u32_u24_sdwa v189, v47, s51 dst_sel:DWORD dst_unused:UNUSED_PAD src0_sel:WORD_1 src1_sel:DWORD
	v_lshl_add_u64 v[46:47], v[40:41], 0, v[108:109]
	global_load_dword v213, v[44:45], off offset:8
	global_load_dword v214, v[46:47], off offset:8
	global_load_dwordx2 v[186:187], v[40:41], off
	s_nop 0
	global_load_dwordx2 v[44:45], v[42:43], off
	v_lshrrev_b32_e32 v41, v206, v185
	v_lshrrev_b32_e32 v42, v207, v185
	;; [unrolled: 1-line block ×3, first 2 shown]
	v_and_or_b32 v40, v212, 16, v211
	v_lshlrev_b32_e32 v41, 12, v41
	v_lshlrev_b32_e32 v42, 20, v42
	;; [unrolled: 1-line block ×3, first 2 shown]
	v_and_or_b32 v41, v41, s30, v40
	v_and_b32_e32 v42, 0x100000, v42
	v_and_b32_e32 v43, 0x10000000, v43
	v_or3_b32 v42, v42, v43, v41
	v_lshrrev_b32_e32 v41, 8, v41
	v_and_b32_e32 v40, 31, v40
	v_and_b32_e32 v41, 31, v41
	v_cvt_f16_u16_e32 v40, v40
	v_cvt_f16_u16_e32 v41, v41
	v_mul_u32_u24_sdwa v43, v184, s51 dst_sel:DWORD dst_unused:UNUSED_PAD src0_sel:WORD_0 src1_sel:DWORD
	v_mul_u32_u24_sdwa v46, v184, s51 dst_sel:DWORD dst_unused:UNUSED_PAD src0_sel:WORD_1 src1_sel:DWORD
	v_pack_b32_f16 v40, v40, v41
	v_pk_fma_f16 v41, v40, v43, v46
	v_and_b32_sdwa v40, v42, v210 dst_sel:DWORD dst_unused:UNUSED_PAD src0_sel:WORD_1 src1_sel:DWORD
	v_cvt_f16_u16_sdwa v42, v42 dst_sel:DWORD dst_unused:UNUSED_PAD src0_sel:BYTE_3
	v_cvt_f16_u16_e32 v40, v40
	v_pack_b32_f16 v40, v40, v42
	v_pk_fma_f16 v42, v40, v43, v46
	v_pk_fma_f16 v40, v41, v93, v48
	;; [unrolled: 1-line block ×5, first 2 shown]
	v_ashrrev_i32_e32 v42, v205, v188
	v_lshrrev_b32_e32 v43, v204, v183
	v_and_b32_e32 v42, 0xf0f0f0f, v42
	v_lshlrev_b32_e32 v43, 4, v43
	v_and_or_b32 v42, v43, 16, v42
	v_lshrrev_b32_e32 v43, v206, v183
	v_lshrrev_b32_e32 v48, v207, v183
	;; [unrolled: 1-line block ×3, first 2 shown]
	v_lshlrev_b32_e32 v43, 12, v43
	v_lshlrev_b32_e32 v48, 20, v48
	;; [unrolled: 1-line block ×3, first 2 shown]
	v_and_or_b32 v43, v43, s30, v42
	v_and_b32_e32 v48, 0x100000, v48
	v_and_b32_e32 v49, 0x10000000, v49
	v_or3_b32 v48, v48, v49, v43
	v_lshrrev_b32_e32 v43, 8, v43
	v_and_b32_e32 v42, 31, v42
	v_and_b32_e32 v43, 31, v43
	v_cvt_f16_u16_e32 v42, v42
	v_cvt_f16_u16_e32 v43, v43
	v_mul_u32_u24_sdwa v49, v182, s51 dst_sel:DWORD dst_unused:UNUSED_PAD src0_sel:WORD_0 src1_sel:DWORD
	v_mul_u32_u24_sdwa v52, v182, s51 dst_sel:DWORD dst_unused:UNUSED_PAD src0_sel:WORD_1 src1_sel:DWORD
	v_pack_b32_f16 v42, v42, v43
	v_pk_fma_f16 v43, v42, v49, v52
	v_and_b32_sdwa v42, v48, v210 dst_sel:DWORD dst_unused:UNUSED_PAD src0_sel:WORD_1 src1_sel:DWORD
	v_cvt_f16_u16_sdwa v48, v48 dst_sel:DWORD dst_unused:UNUSED_PAD src0_sel:BYTE_3
	v_cvt_f16_u16_e32 v42, v42
	v_pack_b32_f16 v42, v42, v48
	v_pk_fma_f16 v188, v42, v49, v52
	v_lshl_add_u64 v[48:49], s[40:41], 0, v[126:127]
	v_mad_u64_u32 v[52:53], s[12:13], v174, 24, v[48:49]
	v_lshl_add_u64 v[182:183], v[52:53], 0, v[106:107]
	v_mad_u64_u32 v[48:49], s[12:13], v172, 24, v[48:49]
	v_pk_fma_f16 v42, v43, v93, v50
	v_lshl_add_u64 v[184:185], v[48:49], 0, v[108:109]
	global_load_dword v50, v[182:183], off offset:8
	global_load_dword v211, v[184:185], off offset:8
	s_nop 0
	global_load_dwordx2 v[182:183], v[48:49], off
	s_nop 0
	global_load_dwordx2 v[52:53], v[52:53], off
	v_pk_fma_f16 v48, v43, v189, v54
	v_pk_fma_f16 v43, v188, v93, v51
	;; [unrolled: 1-line block ×3, first 2 shown]
	v_mul_u32_u24_sdwa v51, v32, s51 dst_sel:DWORD dst_unused:UNUSED_PAD src0_sel:WORD_0 src1_sel:DWORD
	s_waitcnt lgkmcnt(13)
	v_mul_u32_u24_sdwa v54, v36, s51 dst_sel:DWORD dst_unused:UNUSED_PAD src0_sel:WORD_0 src1_sel:DWORD
	ds_write_b128 v195, v[40:43]
	ds_write_b128 v195, v[46:49] offset:16
	v_mul_u32_u24_sdwa v32, v32, s51 dst_sel:DWORD dst_unused:UNUSED_PAD src0_sel:WORD_1 src1_sel:DWORD
	v_mul_u32_u24_sdwa v36, v36, s51 dst_sel:DWORD dst_unused:UNUSED_PAD src0_sel:WORD_1 src1_sel:DWORD
	s_waitcnt vmcnt(7)
	v_ashrrev_i32_e32 v55, v205, v213
	v_and_b32_e32 v55, 0xf0f0f0f, v55
	s_waitcnt vmcnt(4)
	v_lshrrev_b32_e32 v93, v204, v45
	v_lshlrev_b32_e32 v93, 4, v93
	v_and_or_b32 v55, v93, 16, v55
	v_lshrrev_b32_e32 v93, v206, v45
	v_lshrrev_b32_e32 v184, v207, v45
	v_lshrrev_b32_e32 v45, v208, v45
	v_lshlrev_b32_e32 v93, 12, v93
	v_lshlrev_b32_e32 v184, 20, v184
	;; [unrolled: 1-line block ×3, first 2 shown]
	v_and_or_b32 v93, v93, s30, v55
	v_and_b32_e32 v184, 0x100000, v184
	v_and_b32_e32 v45, 0x10000000, v45
	v_or3_b32 v45, v184, v45, v93
	v_lshrrev_b32_e32 v93, 8, v93
	v_and_b32_e32 v55, 31, v55
	v_and_b32_e32 v93, 31, v93
	v_cvt_f16_u16_e32 v55, v55
	v_cvt_f16_u16_e32 v93, v93
	v_pack_b32_f16 v55, v55, v93
	v_and_b32_sdwa v93, v45, v210 dst_sel:DWORD dst_unused:UNUSED_PAD src0_sel:WORD_1 src1_sel:DWORD
	v_cvt_f16_u16_sdwa v45, v45 dst_sel:DWORD dst_unused:UNUSED_PAD src0_sel:BYTE_3
	v_cvt_f16_u16_e32 v93, v93
	v_mul_u32_u24_sdwa v184, v44, s51 dst_sel:DWORD dst_unused:UNUSED_PAD src0_sel:WORD_0 src1_sel:DWORD
	v_mul_u32_u24_sdwa v44, v44, s51 dst_sel:DWORD dst_unused:UNUSED_PAD src0_sel:WORD_1 src1_sel:DWORD
	v_pack_b32_f16 v45, v93, v45
	v_pk_fma_f16 v55, v55, v184, v44
	v_pk_fma_f16 v93, v45, v184, v44
	;; [unrolled: 1-line block ×6, first 2 shown]
	v_ashrrev_i32_e32 v46, v205, v214
	v_lshrrev_b32_e32 v47, v204, v187
	v_and_b32_e32 v46, 0xf0f0f0f, v46
	v_lshlrev_b32_e32 v47, 4, v47
	v_and_or_b32 v46, v47, 16, v46
	v_lshrrev_b32_e32 v47, v206, v187
	v_lshrrev_b32_e32 v55, v207, v187
	;; [unrolled: 1-line block ×3, first 2 shown]
	v_lshlrev_b32_e32 v47, 12, v47
	v_lshlrev_b32_e32 v55, 20, v55
	;; [unrolled: 1-line block ×3, first 2 shown]
	v_and_or_b32 v47, v47, s30, v46
	v_and_b32_e32 v55, 0x100000, v55
	v_and_b32_e32 v93, 0x10000000, v93
	v_or3_b32 v55, v55, v93, v47
	v_lshrrev_b32_e32 v47, 8, v47
	v_and_b32_e32 v46, 31, v46
	v_and_b32_e32 v47, 31, v47
	v_cvt_f16_u16_e32 v46, v46
	v_cvt_f16_u16_e32 v47, v47
	v_mul_u32_u24_sdwa v93, v186, s51 dst_sel:DWORD dst_unused:UNUSED_PAD src0_sel:WORD_0 src1_sel:DWORD
	v_mul_u32_u24_sdwa v184, v186, s51 dst_sel:DWORD dst_unused:UNUSED_PAD src0_sel:WORD_1 src1_sel:DWORD
	v_pack_b32_f16 v46, v46, v47
	v_pk_fma_f16 v47, v46, v93, v184
	v_and_b32_sdwa v46, v55, v210 dst_sel:DWORD dst_unused:UNUSED_PAD src0_sel:WORD_1 src1_sel:DWORD
	v_cvt_f16_u16_sdwa v55, v55 dst_sel:DWORD dst_unused:UNUSED_PAD src0_sel:BYTE_3
	v_cvt_f16_u16_e32 v46, v46
	v_pack_b32_f16 v46, v46, v55
	v_pk_fma_f16 v55, v46, v93, v184
	v_pk_fma_f16 v46, v47, v51, v42
	;; [unrolled: 1-line block ×5, first 2 shown]
	s_waitcnt vmcnt(3)
	v_ashrrev_i32_e32 v48, v205, v50
	v_and_b32_e32 v93, 0xf0f0f0f, v48
	ds_write_b128 v195, v[44:47]
	s_waitcnt vmcnt(0)
	v_lshrrev_b32_e32 v48, v204, v53
	v_lshlrev_b32_e32 v186, 4, v48
	v_lshl_add_u64 v[48:49], s[40:41], 0, v[128:129]
	v_mad_u64_u32 v[50:51], s[12:13], v174, 24, v[48:49]
	ds_write_b128 v195, v[40:43] offset:16
	v_lshl_add_u64 v[54:55], v[50:51], 0, v[106:107]
	v_mad_u64_u32 v[48:49], s[12:13], v172, 24, v[48:49]
	v_lshl_add_u64 v[184:185], v[48:49], 0, v[108:109]
	global_load_dword v187, v[54:55], off offset:8
	global_load_dword v188, v[184:185], off offset:8
	s_nop 0
	global_load_dwordx2 v[48:49], v[48:49], off
	s_nop 0
	global_load_dwordx2 v[50:51], v[50:51], off
	v_and_or_b32 v54, v186, 16, v93
	v_lshrrev_b32_e32 v55, v206, v53
	v_lshrrev_b32_e32 v93, v207, v53
	;; [unrolled: 1-line block ×3, first 2 shown]
	v_lshlrev_b32_e32 v55, 12, v55
	v_lshlrev_b32_e32 v93, 20, v93
	;; [unrolled: 1-line block ×3, first 2 shown]
	v_and_or_b32 v55, v55, s30, v54
	v_and_b32_e32 v93, 0x100000, v93
	v_and_b32_e32 v53, 0x10000000, v53
	v_or3_b32 v53, v93, v53, v55
	v_lshrrev_b32_e32 v55, 8, v55
	v_and_b32_e32 v54, 31, v54
	v_and_b32_e32 v55, 31, v55
	v_cvt_f16_u16_e32 v54, v54
	v_cvt_f16_u16_e32 v55, v55
	v_pack_b32_f16 v54, v54, v55
	v_and_b32_sdwa v55, v53, v210 dst_sel:DWORD dst_unused:UNUSED_PAD src0_sel:WORD_1 src1_sel:DWORD
	v_cvt_f16_u16_sdwa v53, v53 dst_sel:DWORD dst_unused:UNUSED_PAD src0_sel:BYTE_3
	v_cvt_f16_u16_e32 v55, v55
	v_mul_u32_u24_sdwa v93, v52, s51 dst_sel:DWORD dst_unused:UNUSED_PAD src0_sel:WORD_0 src1_sel:DWORD
	v_mul_u32_u24_sdwa v52, v52, s51 dst_sel:DWORD dst_unused:UNUSED_PAD src0_sel:WORD_1 src1_sel:DWORD
	v_pack_b32_f16 v53, v55, v53
	v_pk_fma_f16 v54, v54, v93, v52
	v_pk_fma_f16 v52, v53, v93, v52
	v_lshrrev_b32_e32 v53, v204, v183
	v_pk_fma_f16 v45, v52, v32, v45
	v_pk_fma_f16 v41, v52, v36, v41
	v_ashrrev_i32_e32 v52, v205, v211
	v_and_b32_e32 v52, 0xf0f0f0f, v52
	v_lshlrev_b32_e32 v53, 4, v53
	v_pk_fma_f16 v44, v54, v32, v44
	v_pk_fma_f16 v40, v54, v36, v40
	v_and_or_b32 v52, v53, 16, v52
	v_lshrrev_b32_e32 v53, v206, v183
	v_lshrrev_b32_e32 v54, v207, v183
	;; [unrolled: 1-line block ×3, first 2 shown]
	v_lshlrev_b32_e32 v53, 12, v53
	v_lshlrev_b32_e32 v54, 20, v54
	;; [unrolled: 1-line block ×3, first 2 shown]
	v_and_or_b32 v53, v53, s30, v52
	v_and_b32_e32 v54, 0x100000, v54
	v_and_b32_e32 v55, 0x10000000, v55
	v_or3_b32 v54, v54, v55, v53
	v_lshrrev_b32_e32 v53, 8, v53
	v_and_b32_e32 v52, 31, v52
	v_and_b32_e32 v53, 31, v53
	v_cvt_f16_u16_e32 v52, v52
	v_cvt_f16_u16_e32 v53, v53
	v_mul_u32_u24_sdwa v55, v182, s51 dst_sel:DWORD dst_unused:UNUSED_PAD src0_sel:WORD_0 src1_sel:DWORD
	v_mul_u32_u24_sdwa v93, v182, s51 dst_sel:DWORD dst_unused:UNUSED_PAD src0_sel:WORD_1 src1_sel:DWORD
	v_pack_b32_f16 v52, v52, v53
	v_pk_fma_f16 v186, v52, v55, v93
	v_and_b32_sdwa v52, v54, v210 dst_sel:DWORD dst_unused:UNUSED_PAD src0_sel:WORD_1 src1_sel:DWORD
	v_cvt_f16_u16_sdwa v53, v54 dst_sel:DWORD dst_unused:UNUSED_PAD src0_sel:BYTE_3
	v_cvt_f16_u16_e32 v52, v52
	v_pack_b32_f16 v52, v52, v53
	v_pk_fma_f16 v93, v52, v55, v93
	v_lshl_add_u64 v[52:53], s[40:41], 0, v[130:131]
	v_mad_u64_u32 v[54:55], s[12:13], v174, 24, v[52:53]
	v_lshl_add_u64 v[182:183], v[54:55], 0, v[106:107]
	v_mad_u64_u32 v[52:53], s[12:13], v172, 24, v[52:53]
	v_lshl_add_u64 v[184:185], v[52:53], 0, v[108:109]
	global_load_dword v182, v[182:183], off offset:8
	s_nop 0
	global_load_dword v183, v[184:185], off offset:8
	s_nop 0
	global_load_dwordx2 v[52:53], v[52:53], off
	s_nop 0
	global_load_dwordx2 v[54:55], v[54:55], off
	v_pk_fma_f16 v47, v93, v32, v47
	v_pk_fma_f16 v43, v93, v36, v43
	;; [unrolled: 1-line block ×4, first 2 shown]
	v_mul_u32_u24_sdwa v32, v33, s51 dst_sel:DWORD dst_unused:UNUSED_PAD src0_sel:WORD_0 src1_sel:DWORD
	v_mul_u32_u24_sdwa v36, v37, s51 dst_sel:DWORD dst_unused:UNUSED_PAD src0_sel:WORD_0 src1_sel:DWORD
	ds_write_b128 v195, v[44:47]
	ds_write_b128 v195, v[40:43] offset:16
	s_waitcnt vmcnt(7)
	v_ashrrev_i32_e32 v93, v205, v187
	v_and_b32_e32 v93, 0xf0f0f0f, v93
	s_waitcnt vmcnt(4)
	v_lshrrev_b32_e32 v184, v204, v51
	v_lshlrev_b32_e32 v184, 4, v184
	v_and_or_b32 v93, v184, 16, v93
	v_lshrrev_b32_e32 v184, v206, v51
	v_lshrrev_b32_e32 v185, v207, v51
	;; [unrolled: 1-line block ×3, first 2 shown]
	v_lshlrev_b32_e32 v184, 12, v184
	v_lshlrev_b32_e32 v185, 20, v185
	;; [unrolled: 1-line block ×3, first 2 shown]
	v_and_or_b32 v184, v184, s30, v93
	v_and_b32_e32 v185, 0x100000, v185
	v_and_b32_e32 v51, 0x10000000, v51
	v_or3_b32 v51, v185, v51, v184
	v_lshrrev_b32_e32 v184, 8, v184
	v_and_b32_e32 v93, 31, v93
	v_and_b32_e32 v184, 31, v184
	v_cvt_f16_u16_e32 v93, v93
	v_cvt_f16_u16_e32 v184, v184
	v_pack_b32_f16 v93, v93, v184
	v_and_b32_sdwa v184, v51, v210 dst_sel:DWORD dst_unused:UNUSED_PAD src0_sel:WORD_1 src1_sel:DWORD
	v_cvt_f16_u16_sdwa v51, v51 dst_sel:DWORD dst_unused:UNUSED_PAD src0_sel:BYTE_3
	v_cvt_f16_u16_e32 v184, v184
	v_mul_u32_u24_sdwa v185, v50, s51 dst_sel:DWORD dst_unused:UNUSED_PAD src0_sel:WORD_0 src1_sel:DWORD
	v_mul_u32_u24_sdwa v50, v50, s51 dst_sel:DWORD dst_unused:UNUSED_PAD src0_sel:WORD_1 src1_sel:DWORD
	v_pack_b32_f16 v51, v184, v51
	v_pk_fma_f16 v93, v93, v185, v50
	v_pk_fma_f16 v50, v51, v185, v50
	v_lshrrev_b32_e32 v51, v204, v49
	v_pk_fma_f16 v45, v50, v32, v45
	v_pk_fma_f16 v41, v50, v36, v41
	v_ashrrev_i32_e32 v50, v205, v188
	v_and_b32_e32 v50, 0xf0f0f0f, v50
	v_lshlrev_b32_e32 v51, 4, v51
	v_pk_fma_f16 v44, v93, v32, v44
	v_pk_fma_f16 v40, v93, v36, v40
	v_and_or_b32 v50, v51, 16, v50
	v_lshrrev_b32_e32 v51, v206, v49
	v_lshrrev_b32_e32 v93, v207, v49
	;; [unrolled: 1-line block ×3, first 2 shown]
	v_lshlrev_b32_e32 v51, 12, v51
	v_lshlrev_b32_e32 v93, 20, v93
	;; [unrolled: 1-line block ×3, first 2 shown]
	v_and_or_b32 v51, v51, s30, v50
	v_and_b32_e32 v93, 0x100000, v93
	v_and_b32_e32 v49, 0x10000000, v49
	v_or3_b32 v49, v93, v49, v51
	v_lshrrev_b32_e32 v51, 8, v51
	v_and_b32_e32 v50, 31, v50
	v_and_b32_e32 v51, 31, v51
	v_cvt_f16_u16_e32 v50, v50
	v_cvt_f16_u16_e32 v51, v51
	v_pack_b32_f16 v50, v50, v51
	v_and_b32_sdwa v51, v49, v210 dst_sel:DWORD dst_unused:UNUSED_PAD src0_sel:WORD_1 src1_sel:DWORD
	v_cvt_f16_u16_sdwa v49, v49 dst_sel:DWORD dst_unused:UNUSED_PAD src0_sel:BYTE_3
	v_cvt_f16_u16_e32 v51, v51
	v_mul_u32_u24_sdwa v93, v48, s51 dst_sel:DWORD dst_unused:UNUSED_PAD src0_sel:WORD_0 src1_sel:DWORD
	v_mul_u32_u24_sdwa v48, v48, s51 dst_sel:DWORD dst_unused:UNUSED_PAD src0_sel:WORD_1 src1_sel:DWORD
	v_pack_b32_f16 v49, v51, v49
	v_pk_fma_f16 v50, v50, v93, v48
	v_pk_fma_f16 v48, v49, v93, v48
	;; [unrolled: 1-line block ×4, first 2 shown]
	v_mul_u32_u24_sdwa v93, v33, s51 dst_sel:DWORD dst_unused:UNUSED_PAD src0_sel:WORD_1 src1_sel:DWORD
	s_waitcnt vmcnt(3)
	v_ashrrev_i32_e32 v32, v205, v182
	v_and_b32_e32 v182, 0xf0f0f0f, v32
	v_pk_fma_f16 v42, v50, v36, v42
	s_waitcnt vmcnt(0)
	v_lshrrev_b32_e32 v32, v204, v55
	v_lshlrev_b32_e32 v185, 4, v32
	v_lshl_add_u64 v[32:33], s[40:41], 0, v[132:133]
	v_pk_fma_f16 v43, v48, v36, v43
	v_mul_u32_u24_sdwa v184, v37, s51 dst_sel:DWORD dst_unused:UNUSED_PAD src0_sel:WORD_1 src1_sel:DWORD
	v_mad_u64_u32 v[36:37], s[12:13], v174, 24, v[32:33]
	v_mad_u64_u32 v[32:33], s[12:13], v172, 24, v[32:33]
	ds_write_b128 v195, v[44:47]
	ds_write_b128 v195, v[40:43] offset:16
	v_lshl_add_u64 v[48:49], v[36:37], 0, v[106:107]
	v_lshl_add_u64 v[50:51], v[32:33], 0, v[108:109]
	global_load_dword v186, v[48:49], off offset:8
	global_load_dword v187, v[50:51], off offset:8
	s_nop 0
	global_load_dwordx2 v[32:33], v[32:33], off
	s_nop 0
	global_load_dwordx2 v[36:37], v[36:37], off
	v_lshrrev_b32_e32 v49, v206, v55
	v_lshrrev_b32_e32 v50, v207, v55
	;; [unrolled: 1-line block ×3, first 2 shown]
	v_and_or_b32 v48, v185, 16, v182
	v_lshlrev_b32_e32 v49, 12, v49
	v_lshlrev_b32_e32 v50, 20, v50
	;; [unrolled: 1-line block ×3, first 2 shown]
	v_and_or_b32 v49, v49, s30, v48
	v_and_b32_e32 v50, 0x100000, v50
	v_and_b32_e32 v51, 0x10000000, v51
	v_or3_b32 v50, v50, v51, v49
	v_lshrrev_b32_e32 v49, 8, v49
	v_and_b32_e32 v48, 31, v48
	v_and_b32_e32 v49, 31, v49
	v_cvt_f16_u16_e32 v48, v48
	v_cvt_f16_u16_e32 v49, v49
	v_pack_b32_f16 v48, v48, v49
	v_and_b32_sdwa v49, v50, v210 dst_sel:DWORD dst_unused:UNUSED_PAD src0_sel:WORD_1 src1_sel:DWORD
	v_cvt_f16_u16_sdwa v50, v50 dst_sel:DWORD dst_unused:UNUSED_PAD src0_sel:BYTE_3
	v_cvt_f16_u16_e32 v49, v49
	v_mul_u32_u24_sdwa v51, v54, s51 dst_sel:DWORD dst_unused:UNUSED_PAD src0_sel:WORD_0 src1_sel:DWORD
	v_mul_u32_u24_sdwa v54, v54, s51 dst_sel:DWORD dst_unused:UNUSED_PAD src0_sel:WORD_1 src1_sel:DWORD
	v_pack_b32_f16 v49, v49, v50
	v_pk_fma_f16 v48, v48, v51, v54
	v_pk_fma_f16 v49, v49, v51, v54
	;; [unrolled: 1-line block ×6, first 2 shown]
	v_ashrrev_i32_e32 v48, v205, v183
	v_lshrrev_b32_e32 v49, v204, v53
	v_and_b32_e32 v48, 0xf0f0f0f, v48
	v_lshlrev_b32_e32 v49, 4, v49
	v_and_or_b32 v48, v49, 16, v48
	v_lshrrev_b32_e32 v49, v206, v53
	v_lshrrev_b32_e32 v50, v207, v53
	;; [unrolled: 1-line block ×3, first 2 shown]
	v_lshlrev_b32_e32 v49, 12, v49
	v_lshlrev_b32_e32 v50, 20, v50
	;; [unrolled: 1-line block ×3, first 2 shown]
	v_and_or_b32 v49, v49, s30, v48
	v_and_b32_e32 v50, 0x100000, v50
	v_and_b32_e32 v51, 0x10000000, v51
	v_or3_b32 v50, v50, v51, v49
	v_lshrrev_b32_e32 v49, 8, v49
	v_and_b32_e32 v48, 31, v48
	v_and_b32_e32 v49, 31, v49
	v_cvt_f16_u16_e32 v48, v48
	v_cvt_f16_u16_e32 v49, v49
	v_mul_u32_u24_sdwa v51, v52, s51 dst_sel:DWORD dst_unused:UNUSED_PAD src0_sel:WORD_0 src1_sel:DWORD
	v_mul_u32_u24_sdwa v52, v52, s51 dst_sel:DWORD dst_unused:UNUSED_PAD src0_sel:WORD_1 src1_sel:DWORD
	v_pack_b32_f16 v48, v48, v49
	v_pk_fma_f16 v182, v48, v51, v52
	v_and_b32_sdwa v48, v50, v210 dst_sel:DWORD dst_unused:UNUSED_PAD src0_sel:WORD_1 src1_sel:DWORD
	v_cvt_f16_u16_sdwa v49, v50 dst_sel:DWORD dst_unused:UNUSED_PAD src0_sel:BYTE_3
	v_cvt_f16_u16_e32 v48, v48
	v_pack_b32_f16 v48, v48, v49
	v_pk_fma_f16 v183, v48, v51, v52
	v_lshl_add_u64 v[48:49], s[40:41], 0, v[134:135]
	v_mad_u64_u32 v[50:51], s[12:13], v174, 24, v[48:49]
	v_lshl_add_u64 v[52:53], v[50:51], 0, v[106:107]
	v_mad_u64_u32 v[48:49], s[12:13], v172, 24, v[48:49]
	v_lshl_add_u64 v[54:55], v[48:49], 0, v[108:109]
	global_load_dword v185, v[52:53], off offset:8
	global_load_dword v188, v[54:55], off offset:8
	s_nop 0
	global_load_dwordx2 v[52:53], v[48:49], off
	s_nop 0
	global_load_dwordx2 v[48:49], v[50:51], off
	v_pk_fma_f16 v46, v182, v93, v46
	v_pk_fma_f16 v47, v183, v93, v47
	;; [unrolled: 1-line block ×4, first 2 shown]
	v_mul_u32_u24_sdwa v50, v34, s51 dst_sel:DWORD dst_unused:UNUSED_PAD src0_sel:WORD_0 src1_sel:DWORD
	v_mul_u32_u24_sdwa v51, v38, s51 dst_sel:DWORD dst_unused:UNUSED_PAD src0_sel:WORD_0 src1_sel:DWORD
	ds_write_b128 v195, v[44:47]
	ds_write_b128 v195, v[40:43] offset:16
	v_mul_u32_u24_sdwa v34, v34, s51 dst_sel:DWORD dst_unused:UNUSED_PAD src0_sel:WORD_1 src1_sel:DWORD
	v_mul_u32_u24_sdwa v38, v38, s51 dst_sel:DWORD dst_unused:UNUSED_PAD src0_sel:WORD_1 src1_sel:DWORD
	s_waitcnt vmcnt(7)
	v_ashrrev_i32_e32 v54, v205, v186
	v_and_b32_e32 v54, 0xf0f0f0f, v54
	s_waitcnt vmcnt(4)
	v_lshrrev_b32_e32 v55, v204, v37
	v_lshlrev_b32_e32 v55, 4, v55
	v_and_or_b32 v54, v55, 16, v54
	v_lshrrev_b32_e32 v55, v206, v37
	v_lshrrev_b32_e32 v93, v207, v37
	;; [unrolled: 1-line block ×3, first 2 shown]
	v_lshlrev_b32_e32 v55, 12, v55
	v_lshlrev_b32_e32 v93, 20, v93
	v_lshlrev_b32_e32 v37, 28, v37
	v_and_or_b32 v55, v55, s30, v54
	v_and_b32_e32 v93, 0x100000, v93
	v_and_b32_e32 v37, 0x10000000, v37
	v_or3_b32 v37, v93, v37, v55
	v_lshrrev_b32_e32 v55, 8, v55
	v_and_b32_e32 v54, 31, v54
	v_and_b32_e32 v55, 31, v55
	v_cvt_f16_u16_e32 v54, v54
	v_cvt_f16_u16_e32 v55, v55
	v_pack_b32_f16 v54, v54, v55
	v_and_b32_sdwa v55, v37, v210 dst_sel:DWORD dst_unused:UNUSED_PAD src0_sel:WORD_1 src1_sel:DWORD
	v_cvt_f16_u16_sdwa v37, v37 dst_sel:DWORD dst_unused:UNUSED_PAD src0_sel:BYTE_3
	v_cvt_f16_u16_e32 v55, v55
	v_mul_u32_u24_sdwa v93, v36, s51 dst_sel:DWORD dst_unused:UNUSED_PAD src0_sel:WORD_0 src1_sel:DWORD
	v_mul_u32_u24_sdwa v36, v36, s51 dst_sel:DWORD dst_unused:UNUSED_PAD src0_sel:WORD_1 src1_sel:DWORD
	v_pack_b32_f16 v37, v55, v37
	v_pk_fma_f16 v54, v54, v93, v36
	v_pk_fma_f16 v36, v37, v93, v36
	v_lshrrev_b32_e32 v37, v204, v33
	v_pk_fma_f16 v45, v36, v50, v45
	v_pk_fma_f16 v41, v36, v51, v41
	v_ashrrev_i32_e32 v36, v205, v187
	v_and_b32_e32 v36, 0xf0f0f0f, v36
	v_lshlrev_b32_e32 v37, 4, v37
	v_pk_fma_f16 v44, v54, v50, v44
	v_pk_fma_f16 v40, v54, v51, v40
	v_and_or_b32 v36, v37, 16, v36
	v_lshrrev_b32_e32 v37, v206, v33
	v_lshrrev_b32_e32 v54, v207, v33
	;; [unrolled: 1-line block ×3, first 2 shown]
	v_lshlrev_b32_e32 v37, 12, v37
	v_lshlrev_b32_e32 v54, 20, v54
	;; [unrolled: 1-line block ×3, first 2 shown]
	v_and_or_b32 v37, v37, s30, v36
	v_and_b32_e32 v54, 0x100000, v54
	v_and_b32_e32 v33, 0x10000000, v33
	v_or3_b32 v33, v54, v33, v37
	v_lshrrev_b32_e32 v37, 8, v37
	v_and_b32_e32 v36, 31, v36
	v_and_b32_e32 v37, 31, v37
	v_cvt_f16_u16_e32 v36, v36
	v_cvt_f16_u16_e32 v37, v37
	v_pack_b32_f16 v36, v36, v37
	v_and_b32_sdwa v37, v33, v210 dst_sel:DWORD dst_unused:UNUSED_PAD src0_sel:WORD_1 src1_sel:DWORD
	v_cvt_f16_u16_sdwa v33, v33 dst_sel:DWORD dst_unused:UNUSED_PAD src0_sel:BYTE_3
	v_cvt_f16_u16_e32 v37, v37
	v_mul_u32_u24_sdwa v54, v32, s51 dst_sel:DWORD dst_unused:UNUSED_PAD src0_sel:WORD_0 src1_sel:DWORD
	v_mul_u32_u24_sdwa v32, v32, s51 dst_sel:DWORD dst_unused:UNUSED_PAD src0_sel:WORD_1 src1_sel:DWORD
	v_pack_b32_f16 v33, v37, v33
	v_pk_fma_f16 v36, v36, v54, v32
	v_pk_fma_f16 v32, v33, v54, v32
	;; [unrolled: 1-line block ×5, first 2 shown]
	s_waitcnt vmcnt(3)
	v_ashrrev_i32_e32 v32, v205, v185
	v_and_b32_e32 v93, 0xf0f0f0f, v32
	v_pk_fma_f16 v42, v36, v51, v42
	s_waitcnt vmcnt(0)
	v_lshrrev_b32_e32 v32, v204, v49
	v_lshlrev_b32_e32 v182, 4, v32
	v_lshl_add_u64 v[32:33], s[40:41], 0, v[136:137]
	v_mad_u64_u32 v[36:37], s[12:13], v174, 24, v[32:33]
	v_mad_u64_u32 v[32:33], s[12:13], v172, 24, v[32:33]
	ds_write_b128 v195, v[44:47]
	ds_write_b128 v195, v[40:43] offset:16
	v_lshl_add_u64 v[50:51], v[36:37], 0, v[106:107]
	v_lshl_add_u64 v[54:55], v[32:33], 0, v[108:109]
	global_load_dword v183, v[50:51], off offset:8
	global_load_dword v184, v[54:55], off offset:8
	s_nop 0
	global_load_dwordx2 v[32:33], v[32:33], off
	s_nop 0
	global_load_dwordx2 v[36:37], v[36:37], off
	v_lshrrev_b32_e32 v51, v206, v49
	v_lshrrev_b32_e32 v54, v207, v49
	v_lshrrev_b32_e32 v49, v208, v49
	v_and_or_b32 v50, v182, 16, v93
	v_lshlrev_b32_e32 v51, 12, v51
	v_lshlrev_b32_e32 v54, 20, v54
	;; [unrolled: 1-line block ×3, first 2 shown]
	v_and_or_b32 v51, v51, s30, v50
	v_and_b32_e32 v54, 0x100000, v54
	v_and_b32_e32 v49, 0x10000000, v49
	v_or3_b32 v49, v54, v49, v51
	v_lshrrev_b32_e32 v51, 8, v51
	v_and_b32_e32 v50, 31, v50
	v_and_b32_e32 v51, 31, v51
	v_cvt_f16_u16_e32 v50, v50
	v_cvt_f16_u16_e32 v51, v51
	v_pack_b32_f16 v50, v50, v51
	v_and_b32_sdwa v51, v49, v210 dst_sel:DWORD dst_unused:UNUSED_PAD src0_sel:WORD_1 src1_sel:DWORD
	v_cvt_f16_u16_sdwa v49, v49 dst_sel:DWORD dst_unused:UNUSED_PAD src0_sel:BYTE_3
	v_cvt_f16_u16_e32 v51, v51
	v_mul_u32_u24_sdwa v54, v48, s51 dst_sel:DWORD dst_unused:UNUSED_PAD src0_sel:WORD_0 src1_sel:DWORD
	v_mul_u32_u24_sdwa v48, v48, s51 dst_sel:DWORD dst_unused:UNUSED_PAD src0_sel:WORD_1 src1_sel:DWORD
	v_pack_b32_f16 v49, v51, v49
	v_pk_fma_f16 v50, v50, v54, v48
	v_pk_fma_f16 v49, v49, v54, v48
	;; [unrolled: 1-line block ×5, first 2 shown]
	v_ashrrev_i32_e32 v40, v205, v188
	v_lshrrev_b32_e32 v41, v204, v53
	v_and_b32_e32 v40, 0xf0f0f0f, v40
	v_lshlrev_b32_e32 v41, 4, v41
	v_pk_fma_f16 v44, v50, v34, v44
	v_and_or_b32 v40, v41, 16, v40
	v_lshrrev_b32_e32 v41, v206, v53
	v_lshrrev_b32_e32 v50, v207, v53
	;; [unrolled: 1-line block ×3, first 2 shown]
	v_lshlrev_b32_e32 v41, 12, v41
	v_lshlrev_b32_e32 v50, 20, v50
	;; [unrolled: 1-line block ×3, first 2 shown]
	v_and_or_b32 v41, v41, s30, v40
	v_and_b32_e32 v50, 0x100000, v50
	v_and_b32_e32 v51, 0x10000000, v51
	v_or3_b32 v50, v50, v51, v41
	v_lshrrev_b32_e32 v41, 8, v41
	v_and_b32_e32 v40, 31, v40
	v_and_b32_e32 v41, 31, v41
	v_cvt_f16_u16_e32 v40, v40
	v_cvt_f16_u16_e32 v41, v41
	v_mul_u32_u24_sdwa v51, v52, s51 dst_sel:DWORD dst_unused:UNUSED_PAD src0_sel:WORD_0 src1_sel:DWORD
	v_mul_u32_u24_sdwa v52, v52, s51 dst_sel:DWORD dst_unused:UNUSED_PAD src0_sel:WORD_1 src1_sel:DWORD
	v_pack_b32_f16 v40, v40, v41
	v_pk_fma_f16 v93, v40, v51, v52
	v_and_b32_sdwa v40, v50, v210 dst_sel:DWORD dst_unused:UNUSED_PAD src0_sel:WORD_1 src1_sel:DWORD
	v_cvt_f16_u16_sdwa v41, v50 dst_sel:DWORD dst_unused:UNUSED_PAD src0_sel:BYTE_3
	v_cvt_f16_u16_e32 v40, v40
	v_pack_b32_f16 v40, v40, v41
	v_pk_fma_f16 v182, v40, v51, v52
	v_lshl_add_u64 v[40:41], s[40:41], 0, v[138:139]
	v_mad_u64_u32 v[50:51], s[12:13], v174, 24, v[40:41]
	v_lshl_add_u64 v[52:53], v[50:51], 0, v[106:107]
	v_mad_u64_u32 v[40:41], s[12:13], v172, 24, v[40:41]
	v_lshl_add_u64 v[54:55], v[40:41], 0, v[108:109]
	global_load_dword v185, v[52:53], off offset:8
	global_load_dword v188, v[54:55], off offset:8
	s_nop 0
	global_load_dwordx2 v[40:41], v[40:41], off
	s_nop 0
	global_load_dwordx2 v[186:187], v[50:51], off
	v_pk_fma_f16 v50, v93, v38, v42
	v_pk_fma_f16 v51, v182, v38, v43
	;; [unrolled: 1-line block ×4, first 2 shown]
	v_mul_u32_u24_sdwa v34, v35, s51 dst_sel:DWORD dst_unused:UNUSED_PAD src0_sel:WORD_0 src1_sel:DWORD
	v_mul_u32_u24_sdwa v38, v39, s51 dst_sel:DWORD dst_unused:UNUSED_PAD src0_sel:WORD_0 src1_sel:DWORD
	ds_write_b128 v195, v[44:47]
	ds_write_b128 v195, v[48:51] offset:16
	s_waitcnt vmcnt(7)
	v_ashrrev_i32_e32 v42, v205, v183
	v_and_b32_e32 v42, 0xf0f0f0f, v42
	s_waitcnt vmcnt(4)
	v_lshrrev_b32_e32 v43, v204, v37
	v_lshlrev_b32_e32 v43, 4, v43
	v_and_or_b32 v42, v43, 16, v42
	v_lshrrev_b32_e32 v43, v206, v37
	v_lshrrev_b32_e32 v52, v207, v37
	;; [unrolled: 1-line block ×3, first 2 shown]
	v_lshlrev_b32_e32 v43, 12, v43
	v_lshlrev_b32_e32 v52, 20, v52
	;; [unrolled: 1-line block ×3, first 2 shown]
	v_and_or_b32 v43, v43, s30, v42
	v_and_b32_e32 v52, 0x100000, v52
	v_and_b32_e32 v37, 0x10000000, v37
	v_or3_b32 v37, v52, v37, v43
	v_lshrrev_b32_e32 v43, 8, v43
	v_and_b32_e32 v42, 31, v42
	v_and_b32_e32 v43, 31, v43
	v_cvt_f16_u16_e32 v42, v42
	v_cvt_f16_u16_e32 v43, v43
	v_pack_b32_f16 v42, v42, v43
	v_and_b32_sdwa v43, v37, v210 dst_sel:DWORD dst_unused:UNUSED_PAD src0_sel:WORD_1 src1_sel:DWORD
	v_cvt_f16_u16_sdwa v37, v37 dst_sel:DWORD dst_unused:UNUSED_PAD src0_sel:BYTE_3
	v_cvt_f16_u16_e32 v43, v43
	v_mul_u32_u24_sdwa v52, v36, s51 dst_sel:DWORD dst_unused:UNUSED_PAD src0_sel:WORD_0 src1_sel:DWORD
	v_mul_u32_u24_sdwa v36, v36, s51 dst_sel:DWORD dst_unused:UNUSED_PAD src0_sel:WORD_1 src1_sel:DWORD
	v_pack_b32_f16 v37, v43, v37
	v_pk_fma_f16 v42, v42, v52, v36
	v_pk_fma_f16 v36, v37, v52, v36
	v_lshrrev_b32_e32 v37, v204, v33
	v_pk_fma_f16 v53, v36, v34, v45
	v_pk_fma_f16 v43, v36, v38, v49
	v_ashrrev_i32_e32 v36, v205, v184
	v_and_b32_e32 v36, 0xf0f0f0f, v36
	v_lshlrev_b32_e32 v37, 4, v37
	v_pk_fma_f16 v52, v42, v34, v44
	v_and_or_b32 v36, v37, 16, v36
	v_lshrrev_b32_e32 v37, v206, v33
	v_lshrrev_b32_e32 v44, v207, v33
	;; [unrolled: 1-line block ×3, first 2 shown]
	v_lshlrev_b32_e32 v37, 12, v37
	v_lshlrev_b32_e32 v44, 20, v44
	;; [unrolled: 1-line block ×3, first 2 shown]
	v_and_or_b32 v37, v37, s30, v36
	v_and_b32_e32 v44, 0x100000, v44
	v_and_b32_e32 v33, 0x10000000, v33
	v_or3_b32 v33, v44, v33, v37
	v_lshrrev_b32_e32 v37, 8, v37
	v_and_b32_e32 v36, 31, v36
	v_and_b32_e32 v37, 31, v37
	v_cvt_f16_u16_e32 v36, v36
	v_cvt_f16_u16_e32 v37, v37
	v_pack_b32_f16 v36, v36, v37
	v_and_b32_sdwa v37, v33, v210 dst_sel:DWORD dst_unused:UNUSED_PAD src0_sel:WORD_1 src1_sel:DWORD
	v_cvt_f16_u16_sdwa v33, v33 dst_sel:DWORD dst_unused:UNUSED_PAD src0_sel:BYTE_3
	v_cvt_f16_u16_e32 v37, v37
	v_mul_u32_u24_sdwa v44, v32, s51 dst_sel:DWORD dst_unused:UNUSED_PAD src0_sel:WORD_0 src1_sel:DWORD
	v_mul_u32_u24_sdwa v32, v32, s51 dst_sel:DWORD dst_unused:UNUSED_PAD src0_sel:WORD_1 src1_sel:DWORD
	v_pack_b32_f16 v33, v37, v33
	v_pk_fma_f16 v36, v36, v44, v32
	v_pk_fma_f16 v32, v33, v44, v32
	;; [unrolled: 1-line block ×6, first 2 shown]
	s_waitcnt vmcnt(3)
	v_ashrrev_i32_e32 v32, v205, v185
	v_and_b32_e32 v32, 0xf0f0f0f, v32
	v_pk_fma_f16 v44, v36, v38, v50
	s_waitcnt vmcnt(0)
	v_lshrrev_b32_e32 v33, v204, v187
	v_lshlrev_b32_e32 v33, 4, v33
	v_and_or_b32 v48, v33, 16, v32
	v_lshrrev_b32_e32 v32, v206, v187
	v_lshlrev_b32_e32 v32, 12, v32
	v_and_or_b32 v49, v32, s30, v48
	v_lshl_add_u64 v[32:33], s[40:41], 0, v[140:141]
	v_mul_u32_u24_sdwa v46, v35, s51 dst_sel:DWORD dst_unused:UNUSED_PAD src0_sel:WORD_1 src1_sel:DWORD
	v_mad_u64_u32 v[34:35], s[12:13], v174, 24, v[32:33]
	ds_write_b128 v195, v[52:55]
	ds_write_b128 v195, v[42:45] offset:16
	v_lshl_add_u64 v[36:37], v[34:35], 0, v[106:107]
	v_mad_u64_u32 v[32:33], s[12:13], v172, 24, v[32:33]
	v_mul_u32_u24_sdwa v47, v39, s51 dst_sel:DWORD dst_unused:UNUSED_PAD src0_sel:WORD_1 src1_sel:DWORD
	v_lshl_add_u64 v[38:39], v[32:33], 0, v[108:109]
	global_load_dword v211, v[36:37], off offset:8
	global_load_dword v93, v[38:39], off offset:8
	global_load_dwordx2 v[182:183], v[32:33], off
	global_load_dwordx2 v[184:185], v[34:35], off
	v_lshrrev_b32_e32 v32, v207, v187
	v_lshrrev_b32_e32 v33, v208, v187
	v_lshlrev_b32_e32 v32, 20, v32
	v_lshlrev_b32_e32 v33, 28, v33
	v_and_b32_e32 v32, 0x100000, v32
	v_and_b32_e32 v33, 0x10000000, v33
	v_lshrrev_b32_e32 v34, 8, v49
	v_or3_b32 v32, v32, v33, v49
	v_and_b32_e32 v33, 31, v48
	v_and_b32_e32 v34, 31, v34
	v_cvt_f16_u16_e32 v33, v33
	v_cvt_f16_u16_e32 v34, v34
	v_pack_b32_f16 v33, v33, v34
	v_and_b32_sdwa v34, v32, v210 dst_sel:DWORD dst_unused:UNUSED_PAD src0_sel:WORD_1 src1_sel:DWORD
	v_cvt_f16_u16_sdwa v32, v32 dst_sel:DWORD dst_unused:UNUSED_PAD src0_sel:BYTE_3
	v_cvt_f16_u16_e32 v34, v34
	v_mul_u32_u24_sdwa v35, v186, s51 dst_sel:DWORD dst_unused:UNUSED_PAD src0_sel:WORD_0 src1_sel:DWORD
	v_mul_u32_u24_sdwa v36, v186, s51 dst_sel:DWORD dst_unused:UNUSED_PAD src0_sel:WORD_1 src1_sel:DWORD
	v_pack_b32_f16 v32, v34, v32
	v_pk_fma_f16 v33, v33, v35, v36
	v_pk_fma_f16 v32, v32, v35, v36
	v_pk_fma_f16 v52, v33, v46, v52
	v_pk_fma_f16 v48, v33, v47, v42
	v_pk_fma_f16 v53, v32, v46, v53
	v_pk_fma_f16 v49, v32, v47, v43
	v_ashrrev_i32_e32 v32, v205, v188
	v_lshrrev_b32_e32 v33, v204, v41
	v_and_b32_e32 v32, 0xf0f0f0f, v32
	v_lshlrev_b32_e32 v33, 4, v33
	v_and_or_b32 v32, v33, 16, v32
	v_lshrrev_b32_e32 v33, v206, v41
	v_lshrrev_b32_e32 v34, v207, v41
	v_lshrrev_b32_e32 v35, v208, v41
	v_lshlrev_b32_e32 v33, 12, v33
	v_lshlrev_b32_e32 v34, 20, v34
	;; [unrolled: 1-line block ×3, first 2 shown]
	v_and_or_b32 v33, v33, s30, v32
	v_and_b32_e32 v34, 0x100000, v34
	v_and_b32_e32 v35, 0x10000000, v35
	v_or3_b32 v34, v34, v35, v33
	v_lshrrev_b32_e32 v33, 8, v33
	v_and_b32_e32 v32, 31, v32
	v_and_b32_e32 v33, 31, v33
	v_cvt_f16_u16_e32 v32, v32
	v_cvt_f16_u16_e32 v33, v33
	v_pack_b32_f16 v32, v32, v33
	v_and_b32_sdwa v33, v34, v210 dst_sel:DWORD dst_unused:UNUSED_PAD src0_sel:WORD_1 src1_sel:DWORD
	v_mul_u32_u24_sdwa v35, v40, s51 dst_sel:DWORD dst_unused:UNUSED_PAD src0_sel:WORD_0 src1_sel:DWORD
	v_mul_u32_u24_sdwa v36, v40, s51 dst_sel:DWORD dst_unused:UNUSED_PAD src0_sel:WORD_1 src1_sel:DWORD
	v_cvt_f16_u16_sdwa v34, v34 dst_sel:DWORD dst_unused:UNUSED_PAD src0_sel:BYTE_3
	v_cvt_f16_u16_e32 v33, v33
	v_pk_fma_f16 v32, v32, v35, v36
	v_pack_b32_f16 v33, v33, v34
	v_pk_fma_f16 v51, v33, v35, v36
	v_pk_fma_f16 v54, v32, v46, v54
	;; [unrolled: 1-line block ×3, first 2 shown]
	v_lshl_add_u64 v[32:33], s[40:41], 0, v[142:143]
	v_pk_fma_f16 v55, v51, v46, v55
	v_mad_u64_u32 v[34:35], s[12:13], v174, 24, v[32:33]
	ds_write_b128 v195, v[52:55]
	v_lshl_add_u64 v[36:37], v[34:35], 0, v[106:107]
	v_mad_u64_u32 v[32:33], s[12:13], v172, 24, v[32:33]
	ds_read_b128 v[40:43], v202 offset:32
	v_lshl_add_u64 v[38:39], v[32:33], 0, v[108:109]
	global_load_dword v213, v[36:37], off offset:8
	global_load_dword v212, v[38:39], off offset:8
	global_load_dwordx2 v[186:187], v[32:33], off
	global_load_dwordx2 v[188:189], v[34:35], off
	v_pk_fma_f16 v51, v51, v47, v45
	ds_read_b128 v[44:47], v202 offset:288
	ds_read_b128 v[32:35], v202 offset:48
	s_waitcnt lgkmcnt(2)
	v_mul_u32_u24_sdwa v214, v40, s51 dst_sel:DWORD dst_unused:UNUSED_PAD src0_sel:WORD_0 src1_sel:DWORD
	ds_write_b128 v195, v[48:51] offset:16
	ds_read_b128 v[36:39], v202 offset:304
	s_waitcnt lgkmcnt(3)
	v_mul_u32_u24_sdwa v215, v44, s51 dst_sel:DWORD dst_unused:UNUSED_PAD src0_sel:WORD_0 src1_sel:DWORD
	v_mul_u32_u24_sdwa v40, v40, s51 dst_sel:DWORD dst_unused:UNUSED_PAD src0_sel:WORD_1 src1_sel:DWORD
	v_mul_u32_u24_sdwa v44, v44, s51 dst_sel:DWORD dst_unused:UNUSED_PAD src0_sel:WORD_1 src1_sel:DWORD
	s_waitcnt vmcnt(7)
	v_ashrrev_i32_e32 v211, v205, v211
	v_and_b32_e32 v211, 0xf0f0f0f, v211
	s_waitcnt vmcnt(6)
	v_ashrrev_i32_e32 v93, v205, v93
	s_waitcnt vmcnt(4)
	v_lshrrev_b32_e32 v216, v204, v185
	v_lshlrev_b32_e32 v216, 4, v216
	v_and_or_b32 v211, v216, 16, v211
	v_lshrrev_b32_e32 v216, v206, v185
	v_lshrrev_b32_e32 v217, v207, v185
	;; [unrolled: 1-line block ×3, first 2 shown]
	v_lshlrev_b32_e32 v216, 12, v216
	v_lshlrev_b32_e32 v217, 20, v217
	;; [unrolled: 1-line block ×3, first 2 shown]
	v_and_or_b32 v216, v216, s30, v211
	v_and_b32_e32 v217, 0x100000, v217
	v_and_b32_e32 v185, 0x10000000, v185
	v_or3_b32 v185, v217, v185, v216
	v_lshrrev_b32_e32 v216, 8, v216
	v_and_b32_e32 v211, 31, v211
	v_and_b32_e32 v216, 31, v216
	v_cvt_f16_u16_e32 v211, v211
	v_cvt_f16_u16_e32 v216, v216
	v_pack_b32_f16 v211, v211, v216
	v_and_b32_sdwa v216, v185, v210 dst_sel:DWORD dst_unused:UNUSED_PAD src0_sel:WORD_1 src1_sel:DWORD
	v_cvt_f16_u16_sdwa v185, v185 dst_sel:DWORD dst_unused:UNUSED_PAD src0_sel:BYTE_3
	v_cvt_f16_u16_e32 v216, v216
	v_mul_u32_u24_sdwa v217, v184, s51 dst_sel:DWORD dst_unused:UNUSED_PAD src0_sel:WORD_0 src1_sel:DWORD
	v_mul_u32_u24_sdwa v184, v184, s51 dst_sel:DWORD dst_unused:UNUSED_PAD src0_sel:WORD_1 src1_sel:DWORD
	v_pack_b32_f16 v185, v216, v185
	v_pk_fma_f16 v211, v211, v217, v184
	v_pk_fma_f16 v184, v185, v217, v184
	v_and_b32_e32 v93, 0xf0f0f0f, v93
	v_pk_fma_f16 v53, v184, v214, v53
	v_pk_fma_f16 v49, v184, v215, v49
	v_lshrrev_b32_e32 v184, v204, v183
	v_lshlrev_b32_e32 v184, 4, v184
	v_and_or_b32 v93, v184, 16, v93
	v_lshrrev_b32_e32 v184, v206, v183
	v_lshrrev_b32_e32 v185, v207, v183
	;; [unrolled: 1-line block ×3, first 2 shown]
	v_lshlrev_b32_e32 v184, 12, v184
	v_lshlrev_b32_e32 v185, 20, v185
	;; [unrolled: 1-line block ×3, first 2 shown]
	v_and_or_b32 v184, v184, s30, v93
	v_and_b32_e32 v185, 0x100000, v185
	v_and_b32_e32 v183, 0x10000000, v183
	v_or3_b32 v183, v185, v183, v184
	v_lshrrev_b32_e32 v184, 8, v184
	v_and_b32_e32 v93, 31, v93
	v_and_b32_e32 v184, 31, v184
	v_cvt_f16_u16_e32 v93, v93
	v_cvt_f16_u16_e32 v184, v184
	v_pack_b32_f16 v93, v93, v184
	v_and_b32_sdwa v184, v183, v210 dst_sel:DWORD dst_unused:UNUSED_PAD src0_sel:WORD_1 src1_sel:DWORD
	v_cvt_f16_u16_sdwa v183, v183 dst_sel:DWORD dst_unused:UNUSED_PAD src0_sel:BYTE_3
	v_cvt_f16_u16_e32 v184, v184
	v_mul_u32_u24_sdwa v185, v182, s51 dst_sel:DWORD dst_unused:UNUSED_PAD src0_sel:WORD_0 src1_sel:DWORD
	v_mul_u32_u24_sdwa v182, v182, s51 dst_sel:DWORD dst_unused:UNUSED_PAD src0_sel:WORD_1 src1_sel:DWORD
	v_pack_b32_f16 v183, v184, v183
	v_pk_fma_f16 v93, v93, v185, v182
	v_pk_fma_f16 v182, v183, v185, v182
	;; [unrolled: 1-line block ×8, first 2 shown]
	ds_write_b128 v195, v[52:55]
	ds_write_b128 v195, v[48:51] offset:16
	s_waitcnt vmcnt(3)
	v_ashrrev_i32_e32 v93, v205, v213
	v_and_b32_e32 v93, 0xf0f0f0f, v93
	s_waitcnt vmcnt(0)
	v_lshrrev_b32_e32 v182, v204, v189
	v_lshlrev_b32_e32 v211, 4, v182
	v_lshl_add_u64 v[182:183], s[40:41], 0, v[144:145]
	v_mad_u64_u32 v[184:185], s[12:13], v174, 24, v[182:183]
	v_mad_u64_u32 v[182:183], s[12:13], v172, 24, v[182:183]
	v_lshl_add_u64 v[214:215], v[184:185], 0, v[106:107]
	v_lshl_add_u64 v[216:217], v[182:183], 0, v[108:109]
	global_load_dword v218, v[214:215], off offset:8
	s_nop 0
	global_load_dword v216, v[216:217], off offset:8
	s_nop 0
	global_load_dwordx2 v[182:183], v[182:183], off
	s_nop 0
	global_load_dwordx2 v[184:185], v[184:185], off
	v_and_or_b32 v93, v211, 16, v93
	v_lshrrev_b32_e32 v211, v206, v189
	v_lshrrev_b32_e32 v213, v207, v189
	;; [unrolled: 1-line block ×3, first 2 shown]
	v_lshlrev_b32_e32 v211, 12, v211
	v_lshlrev_b32_e32 v213, 20, v213
	;; [unrolled: 1-line block ×3, first 2 shown]
	v_and_or_b32 v211, v211, s30, v93
	v_and_b32_e32 v213, 0x100000, v213
	v_and_b32_e32 v189, 0x10000000, v189
	v_or3_b32 v189, v213, v189, v211
	v_lshrrev_b32_e32 v211, 8, v211
	v_and_b32_e32 v93, 31, v93
	v_and_b32_e32 v211, 31, v211
	v_cvt_f16_u16_e32 v93, v93
	v_cvt_f16_u16_e32 v211, v211
	v_pack_b32_f16 v93, v93, v211
	v_and_b32_sdwa v211, v189, v210 dst_sel:DWORD dst_unused:UNUSED_PAD src0_sel:WORD_1 src1_sel:DWORD
	v_cvt_f16_u16_sdwa v189, v189 dst_sel:DWORD dst_unused:UNUSED_PAD src0_sel:BYTE_3
	v_cvt_f16_u16_e32 v211, v211
	v_mul_u32_u24_sdwa v213, v188, s51 dst_sel:DWORD dst_unused:UNUSED_PAD src0_sel:WORD_0 src1_sel:DWORD
	v_mul_u32_u24_sdwa v188, v188, s51 dst_sel:DWORD dst_unused:UNUSED_PAD src0_sel:WORD_1 src1_sel:DWORD
	v_pack_b32_f16 v189, v211, v189
	v_pk_fma_f16 v93, v93, v213, v188
	v_pk_fma_f16 v188, v189, v213, v188
	;; [unrolled: 1-line block ×6, first 2 shown]
	v_ashrrev_i32_e32 v93, v205, v212
	v_lshrrev_b32_e32 v188, v204, v187
	v_and_b32_e32 v93, 0xf0f0f0f, v93
	v_lshlrev_b32_e32 v188, 4, v188
	v_and_or_b32 v93, v188, 16, v93
	v_lshrrev_b32_e32 v188, v206, v187
	v_lshrrev_b32_e32 v189, v207, v187
	;; [unrolled: 1-line block ×3, first 2 shown]
	v_lshlrev_b32_e32 v188, 12, v188
	v_lshlrev_b32_e32 v189, 20, v189
	;; [unrolled: 1-line block ×3, first 2 shown]
	v_and_or_b32 v188, v188, s30, v93
	v_and_b32_e32 v189, 0x100000, v189
	v_and_b32_e32 v187, 0x10000000, v187
	v_or3_b32 v187, v189, v187, v188
	v_lshrrev_b32_e32 v188, 8, v188
	v_and_b32_e32 v93, 31, v93
	v_and_b32_e32 v188, 31, v188
	v_cvt_f16_u16_e32 v93, v93
	v_cvt_f16_u16_e32 v188, v188
	v_pack_b32_f16 v93, v93, v188
	v_and_b32_sdwa v188, v187, v210 dst_sel:DWORD dst_unused:UNUSED_PAD src0_sel:WORD_1 src1_sel:DWORD
	v_cvt_f16_u16_sdwa v187, v187 dst_sel:DWORD dst_unused:UNUSED_PAD src0_sel:BYTE_3
	v_cvt_f16_u16_e32 v188, v188
	v_mul_u32_u24_sdwa v189, v186, s51 dst_sel:DWORD dst_unused:UNUSED_PAD src0_sel:WORD_0 src1_sel:DWORD
	v_mul_u32_u24_sdwa v186, v186, s51 dst_sel:DWORD dst_unused:UNUSED_PAD src0_sel:WORD_1 src1_sel:DWORD
	v_pack_b32_f16 v187, v188, v187
	v_pk_fma_f16 v93, v93, v189, v186
	v_pk_fma_f16 v211, v187, v189, v186
	v_lshl_add_u64 v[186:187], s[40:41], 0, v[146:147]
	v_mad_u64_u32 v[188:189], s[12:13], v174, 24, v[186:187]
	v_lshl_add_u64 v[212:213], v[188:189], 0, v[106:107]
	v_mad_u64_u32 v[186:187], s[12:13], v172, 24, v[186:187]
	v_lshl_add_u64 v[214:215], v[186:187], 0, v[108:109]
	global_load_dword v212, v[212:213], off offset:8
	s_nop 0
	global_load_dword v213, v[214:215], off offset:8
	s_nop 0
	global_load_dwordx2 v[186:187], v[186:187], off
	s_nop 0
	global_load_dwordx2 v[188:189], v[188:189], off
	v_pk_fma_f16 v54, v93, v40, v54
	v_pk_fma_f16 v50, v93, v44, v50
	;; [unrolled: 1-line block ×4, first 2 shown]
	v_mul_u32_u24_sdwa v40, v41, s51 dst_sel:DWORD dst_unused:UNUSED_PAD src0_sel:WORD_0 src1_sel:DWORD
	v_mul_u32_u24_sdwa v44, v45, s51 dst_sel:DWORD dst_unused:UNUSED_PAD src0_sel:WORD_0 src1_sel:DWORD
	ds_write_b128 v195, v[52:55]
	ds_write_b128 v195, v[48:51] offset:16
	s_waitcnt vmcnt(7)
	v_ashrrev_i32_e32 v93, v205, v218
	v_and_b32_e32 v93, 0xf0f0f0f, v93
	s_waitcnt vmcnt(4)
	v_lshrrev_b32_e32 v211, v204, v185
	v_lshlrev_b32_e32 v211, 4, v211
	v_and_or_b32 v93, v211, 16, v93
	v_lshrrev_b32_e32 v211, v206, v185
	v_lshrrev_b32_e32 v214, v207, v185
	;; [unrolled: 1-line block ×3, first 2 shown]
	v_lshlrev_b32_e32 v211, 12, v211
	v_lshlrev_b32_e32 v214, 20, v214
	v_lshlrev_b32_e32 v185, 28, v185
	v_and_or_b32 v211, v211, s30, v93
	v_and_b32_e32 v214, 0x100000, v214
	v_and_b32_e32 v185, 0x10000000, v185
	v_or3_b32 v185, v214, v185, v211
	v_lshrrev_b32_e32 v211, 8, v211
	v_and_b32_e32 v93, 31, v93
	v_and_b32_e32 v211, 31, v211
	v_cvt_f16_u16_e32 v93, v93
	v_cvt_f16_u16_e32 v211, v211
	v_pack_b32_f16 v93, v93, v211
	v_and_b32_sdwa v211, v185, v210 dst_sel:DWORD dst_unused:UNUSED_PAD src0_sel:WORD_1 src1_sel:DWORD
	v_cvt_f16_u16_sdwa v185, v185 dst_sel:DWORD dst_unused:UNUSED_PAD src0_sel:BYTE_3
	v_cvt_f16_u16_e32 v211, v211
	v_mul_u32_u24_sdwa v214, v184, s51 dst_sel:DWORD dst_unused:UNUSED_PAD src0_sel:WORD_0 src1_sel:DWORD
	v_mul_u32_u24_sdwa v184, v184, s51 dst_sel:DWORD dst_unused:UNUSED_PAD src0_sel:WORD_1 src1_sel:DWORD
	v_pack_b32_f16 v185, v211, v185
	v_pk_fma_f16 v93, v93, v214, v184
	v_pk_fma_f16 v184, v185, v214, v184
	;; [unrolled: 1-line block ×6, first 2 shown]
	v_ashrrev_i32_e32 v93, v205, v216
	v_lshrrev_b32_e32 v184, v204, v183
	v_and_b32_e32 v93, 0xf0f0f0f, v93
	v_lshlrev_b32_e32 v184, 4, v184
	v_and_or_b32 v93, v184, 16, v93
	v_lshrrev_b32_e32 v184, v206, v183
	v_lshrrev_b32_e32 v185, v207, v183
	;; [unrolled: 1-line block ×3, first 2 shown]
	v_lshlrev_b32_e32 v184, 12, v184
	v_lshlrev_b32_e32 v185, 20, v185
	;; [unrolled: 1-line block ×3, first 2 shown]
	v_and_or_b32 v184, v184, s30, v93
	v_and_b32_e32 v185, 0x100000, v185
	v_and_b32_e32 v183, 0x10000000, v183
	v_or3_b32 v183, v185, v183, v184
	v_lshrrev_b32_e32 v184, 8, v184
	v_and_b32_e32 v93, 31, v93
	v_and_b32_e32 v184, 31, v184
	v_cvt_f16_u16_e32 v93, v93
	v_cvt_f16_u16_e32 v184, v184
	v_pack_b32_f16 v93, v93, v184
	v_and_b32_sdwa v184, v183, v210 dst_sel:DWORD dst_unused:UNUSED_PAD src0_sel:WORD_1 src1_sel:DWORD
	v_cvt_f16_u16_sdwa v183, v183 dst_sel:DWORD dst_unused:UNUSED_PAD src0_sel:BYTE_3
	v_cvt_f16_u16_e32 v184, v184
	v_mul_u32_u24_sdwa v185, v182, s51 dst_sel:DWORD dst_unused:UNUSED_PAD src0_sel:WORD_0 src1_sel:DWORD
	v_mul_u32_u24_sdwa v182, v182, s51 dst_sel:DWORD dst_unused:UNUSED_PAD src0_sel:WORD_1 src1_sel:DWORD
	v_pack_b32_f16 v183, v184, v183
	v_pk_fma_f16 v93, v93, v185, v182
	v_pk_fma_f16 v182, v183, v185, v182
	;; [unrolled: 1-line block ×5, first 2 shown]
	s_waitcnt vmcnt(3)
	v_ashrrev_i32_e32 v40, v205, v212
	v_and_b32_e32 v212, 0xf0f0f0f, v40
	v_mul_u32_u24_sdwa v93, v41, s51 dst_sel:DWORD dst_unused:UNUSED_PAD src0_sel:WORD_1 src1_sel:DWORD
	s_waitcnt vmcnt(0)
	v_lshrrev_b32_e32 v40, v204, v189
	v_lshlrev_b32_e32 v214, 4, v40
	v_lshl_add_u64 v[40:41], s[40:41], 0, v[148:149]
	v_pk_fma_f16 v51, v182, v44, v51
	v_mul_u32_u24_sdwa v211, v45, s51 dst_sel:DWORD dst_unused:UNUSED_PAD src0_sel:WORD_1 src1_sel:DWORD
	v_mad_u64_u32 v[44:45], s[12:13], v174, 24, v[40:41]
	v_mad_u64_u32 v[40:41], s[12:13], v172, 24, v[40:41]
	ds_write_b128 v195, v[52:55]
	ds_write_b128 v195, v[48:51] offset:16
	v_lshl_add_u64 v[182:183], v[44:45], 0, v[106:107]
	v_lshl_add_u64 v[184:185], v[40:41], 0, v[108:109]
	global_load_dword v215, v[182:183], off offset:8
	global_load_dword v216, v[184:185], off offset:8
	s_nop 0
	global_load_dwordx2 v[40:41], v[40:41], off
	s_nop 0
	global_load_dwordx2 v[44:45], v[44:45], off
	v_lshrrev_b32_e32 v183, v206, v189
	v_lshrrev_b32_e32 v184, v207, v189
	;; [unrolled: 1-line block ×3, first 2 shown]
	v_and_or_b32 v182, v214, 16, v212
	v_lshlrev_b32_e32 v183, 12, v183
	v_lshlrev_b32_e32 v184, 20, v184
	;; [unrolled: 1-line block ×3, first 2 shown]
	v_and_or_b32 v183, v183, s30, v182
	v_and_b32_e32 v184, 0x100000, v184
	v_and_b32_e32 v185, 0x10000000, v185
	v_or3_b32 v184, v184, v185, v183
	v_lshrrev_b32_e32 v183, 8, v183
	v_and_b32_e32 v182, 31, v182
	v_and_b32_e32 v183, 31, v183
	v_cvt_f16_u16_e32 v182, v182
	v_cvt_f16_u16_e32 v183, v183
	v_pack_b32_f16 v182, v182, v183
	v_and_b32_sdwa v183, v184, v210 dst_sel:DWORD dst_unused:UNUSED_PAD src0_sel:WORD_1 src1_sel:DWORD
	v_cvt_f16_u16_sdwa v184, v184 dst_sel:DWORD dst_unused:UNUSED_PAD src0_sel:BYTE_3
	v_cvt_f16_u16_e32 v183, v183
	v_mul_u32_u24_sdwa v185, v188, s51 dst_sel:DWORD dst_unused:UNUSED_PAD src0_sel:WORD_0 src1_sel:DWORD
	v_mul_u32_u24_sdwa v188, v188, s51 dst_sel:DWORD dst_unused:UNUSED_PAD src0_sel:WORD_1 src1_sel:DWORD
	v_pack_b32_f16 v183, v183, v184
	v_pk_fma_f16 v182, v182, v185, v188
	v_pk_fma_f16 v183, v183, v185, v188
	;; [unrolled: 1-line block ×6, first 2 shown]
	v_ashrrev_i32_e32 v182, v205, v213
	v_lshrrev_b32_e32 v183, v204, v187
	v_and_b32_e32 v182, 0xf0f0f0f, v182
	v_lshlrev_b32_e32 v183, 4, v183
	v_and_or_b32 v182, v183, 16, v182
	v_lshrrev_b32_e32 v183, v206, v187
	v_lshrrev_b32_e32 v184, v207, v187
	v_lshrrev_b32_e32 v185, v208, v187
	v_lshlrev_b32_e32 v183, 12, v183
	v_lshlrev_b32_e32 v184, 20, v184
	;; [unrolled: 1-line block ×3, first 2 shown]
	v_and_or_b32 v183, v183, s30, v182
	v_and_b32_e32 v184, 0x100000, v184
	v_and_b32_e32 v185, 0x10000000, v185
	v_or3_b32 v184, v184, v185, v183
	v_lshrrev_b32_e32 v183, 8, v183
	v_and_b32_e32 v182, 31, v182
	v_and_b32_e32 v183, 31, v183
	v_cvt_f16_u16_e32 v182, v182
	v_cvt_f16_u16_e32 v183, v183
	v_mul_u32_u24_sdwa v185, v186, s51 dst_sel:DWORD dst_unused:UNUSED_PAD src0_sel:WORD_0 src1_sel:DWORD
	v_mul_u32_u24_sdwa v186, v186, s51 dst_sel:DWORD dst_unused:UNUSED_PAD src0_sel:WORD_1 src1_sel:DWORD
	v_pack_b32_f16 v182, v182, v183
	v_pk_fma_f16 v212, v182, v185, v186
	v_and_b32_sdwa v182, v184, v210 dst_sel:DWORD dst_unused:UNUSED_PAD src0_sel:WORD_1 src1_sel:DWORD
	v_cvt_f16_u16_sdwa v183, v184 dst_sel:DWORD dst_unused:UNUSED_PAD src0_sel:BYTE_3
	v_cvt_f16_u16_e32 v182, v182
	v_pack_b32_f16 v182, v182, v183
	v_pk_fma_f16 v213, v182, v185, v186
	v_lshl_add_u64 v[182:183], s[40:41], 0, v[150:151]
	v_mad_u64_u32 v[184:185], s[12:13], v174, 24, v[182:183]
	v_lshl_add_u64 v[186:187], v[184:185], 0, v[106:107]
	v_mad_u64_u32 v[182:183], s[12:13], v172, 24, v[182:183]
	v_lshl_add_u64 v[188:189], v[182:183], 0, v[108:109]
	global_load_dword v186, v[186:187], off offset:8
	s_nop 0
	global_load_dword v214, v[188:189], off offset:8
	s_nop 0
	global_load_dwordx2 v[182:183], v[182:183], off
	s_nop 0
	global_load_dwordx2 v[184:185], v[184:185], off
	v_pk_fma_f16 v50, v212, v211, v50
	v_pk_fma_f16 v51, v213, v211, v51
	;; [unrolled: 1-line block ×4, first 2 shown]
	v_mul_u32_u24_sdwa v93, v42, s51 dst_sel:DWORD dst_unused:UNUSED_PAD src0_sel:WORD_0 src1_sel:DWORD
	v_mul_u32_u24_sdwa v187, v46, s51 dst_sel:DWORD dst_unused:UNUSED_PAD src0_sel:WORD_0 src1_sel:DWORD
	ds_write_b128 v195, v[52:55]
	ds_write_b128 v195, v[48:51] offset:16
	v_mul_u32_u24_sdwa v42, v42, s51 dst_sel:DWORD dst_unused:UNUSED_PAD src0_sel:WORD_1 src1_sel:DWORD
	v_mul_u32_u24_sdwa v46, v46, s51 dst_sel:DWORD dst_unused:UNUSED_PAD src0_sel:WORD_1 src1_sel:DWORD
	s_waitcnt vmcnt(7)
	v_ashrrev_i32_e32 v188, v205, v215
	v_and_b32_e32 v188, 0xf0f0f0f, v188
	s_waitcnt vmcnt(4)
	v_lshrrev_b32_e32 v189, v204, v45
	v_lshlrev_b32_e32 v189, 4, v189
	v_and_or_b32 v188, v189, 16, v188
	v_lshrrev_b32_e32 v189, v206, v45
	v_lshrrev_b32_e32 v211, v207, v45
	;; [unrolled: 1-line block ×3, first 2 shown]
	v_lshlrev_b32_e32 v189, 12, v189
	v_lshlrev_b32_e32 v211, 20, v211
	;; [unrolled: 1-line block ×3, first 2 shown]
	v_and_or_b32 v189, v189, s30, v188
	v_and_b32_e32 v211, 0x100000, v211
	v_and_b32_e32 v45, 0x10000000, v45
	v_or3_b32 v45, v211, v45, v189
	v_lshrrev_b32_e32 v189, 8, v189
	v_and_b32_e32 v188, 31, v188
	v_and_b32_e32 v189, 31, v189
	v_cvt_f16_u16_e32 v188, v188
	v_cvt_f16_u16_e32 v189, v189
	v_pack_b32_f16 v188, v188, v189
	v_and_b32_sdwa v189, v45, v210 dst_sel:DWORD dst_unused:UNUSED_PAD src0_sel:WORD_1 src1_sel:DWORD
	v_cvt_f16_u16_sdwa v45, v45 dst_sel:DWORD dst_unused:UNUSED_PAD src0_sel:BYTE_3
	v_cvt_f16_u16_e32 v189, v189
	v_mul_u32_u24_sdwa v211, v44, s51 dst_sel:DWORD dst_unused:UNUSED_PAD src0_sel:WORD_0 src1_sel:DWORD
	v_mul_u32_u24_sdwa v44, v44, s51 dst_sel:DWORD dst_unused:UNUSED_PAD src0_sel:WORD_1 src1_sel:DWORD
	v_pack_b32_f16 v45, v189, v45
	v_pk_fma_f16 v188, v188, v211, v44
	v_pk_fma_f16 v44, v45, v211, v44
	v_lshrrev_b32_e32 v45, v204, v41
	v_pk_fma_f16 v53, v44, v93, v53
	v_pk_fma_f16 v49, v44, v187, v49
	v_ashrrev_i32_e32 v44, v205, v216
	v_and_b32_e32 v44, 0xf0f0f0f, v44
	v_lshlrev_b32_e32 v45, 4, v45
	v_pk_fma_f16 v52, v188, v93, v52
	v_pk_fma_f16 v48, v188, v187, v48
	v_and_or_b32 v44, v45, 16, v44
	v_lshrrev_b32_e32 v45, v206, v41
	v_lshrrev_b32_e32 v188, v207, v41
	;; [unrolled: 1-line block ×3, first 2 shown]
	v_lshlrev_b32_e32 v45, 12, v45
	v_lshlrev_b32_e32 v188, 20, v188
	;; [unrolled: 1-line block ×3, first 2 shown]
	v_and_or_b32 v45, v45, s30, v44
	v_and_b32_e32 v188, 0x100000, v188
	v_and_b32_e32 v41, 0x10000000, v41
	v_or3_b32 v41, v188, v41, v45
	v_lshrrev_b32_e32 v45, 8, v45
	v_and_b32_e32 v44, 31, v44
	v_and_b32_e32 v45, 31, v45
	v_cvt_f16_u16_e32 v44, v44
	v_cvt_f16_u16_e32 v45, v45
	v_pack_b32_f16 v44, v44, v45
	v_and_b32_sdwa v45, v41, v210 dst_sel:DWORD dst_unused:UNUSED_PAD src0_sel:WORD_1 src1_sel:DWORD
	v_cvt_f16_u16_sdwa v41, v41 dst_sel:DWORD dst_unused:UNUSED_PAD src0_sel:BYTE_3
	v_cvt_f16_u16_e32 v45, v45
	v_mul_u32_u24_sdwa v188, v40, s51 dst_sel:DWORD dst_unused:UNUSED_PAD src0_sel:WORD_0 src1_sel:DWORD
	v_mul_u32_u24_sdwa v40, v40, s51 dst_sel:DWORD dst_unused:UNUSED_PAD src0_sel:WORD_1 src1_sel:DWORD
	v_pack_b32_f16 v41, v45, v41
	v_pk_fma_f16 v44, v44, v188, v40
	v_pk_fma_f16 v40, v41, v188, v40
	;; [unrolled: 1-line block ×5, first 2 shown]
	s_waitcnt vmcnt(3)
	v_ashrrev_i32_e32 v40, v205, v186
	v_and_b32_e32 v93, 0xf0f0f0f, v40
	v_pk_fma_f16 v50, v44, v187, v50
	s_waitcnt vmcnt(0)
	v_lshrrev_b32_e32 v40, v204, v185
	v_lshlrev_b32_e32 v211, 4, v40
	v_lshl_add_u64 v[40:41], s[40:41], 0, v[152:153]
	v_mad_u64_u32 v[44:45], s[12:13], v174, 24, v[40:41]
	ds_write_b128 v195, v[52:55]
	ds_write_b128 v195, v[48:51] offset:16
	v_lshl_add_u64 v[186:187], v[44:45], 0, v[106:107]
	v_mad_u64_u32 v[40:41], s[12:13], v172, 24, v[40:41]
	v_lshl_add_u64 v[188:189], v[40:41], 0, v[108:109]
	global_load_dword v212, v[186:187], off offset:8
	global_load_dword v213, v[188:189], off offset:8
	s_nop 0
	global_load_dwordx2 v[40:41], v[40:41], off
	s_nop 0
	global_load_dwordx2 v[44:45], v[44:45], off
	v_lshrrev_b32_e32 v186, v206, v185
	v_lshrrev_b32_e32 v187, v207, v185
	;; [unrolled: 1-line block ×3, first 2 shown]
	v_and_or_b32 v93, v211, 16, v93
	v_lshlrev_b32_e32 v186, 12, v186
	v_lshlrev_b32_e32 v187, 20, v187
	;; [unrolled: 1-line block ×3, first 2 shown]
	v_and_or_b32 v186, v186, s30, v93
	v_and_b32_e32 v187, 0x100000, v187
	v_and_b32_e32 v185, 0x10000000, v185
	v_or3_b32 v185, v187, v185, v186
	v_lshrrev_b32_e32 v186, 8, v186
	v_and_b32_e32 v93, 31, v93
	v_and_b32_e32 v186, 31, v186
	v_cvt_f16_u16_e32 v93, v93
	v_cvt_f16_u16_e32 v186, v186
	v_pack_b32_f16 v93, v93, v186
	v_and_b32_sdwa v186, v185, v210 dst_sel:DWORD dst_unused:UNUSED_PAD src0_sel:WORD_1 src1_sel:DWORD
	v_cvt_f16_u16_sdwa v185, v185 dst_sel:DWORD dst_unused:UNUSED_PAD src0_sel:BYTE_3
	v_cvt_f16_u16_e32 v186, v186
	v_mul_u32_u24_sdwa v187, v184, s51 dst_sel:DWORD dst_unused:UNUSED_PAD src0_sel:WORD_0 src1_sel:DWORD
	v_mul_u32_u24_sdwa v184, v184, s51 dst_sel:DWORD dst_unused:UNUSED_PAD src0_sel:WORD_1 src1_sel:DWORD
	v_pack_b32_f16 v185, v186, v185
	v_pk_fma_f16 v93, v93, v187, v184
	v_pk_fma_f16 v184, v185, v187, v184
	;; [unrolled: 1-line block ×6, first 2 shown]
	v_ashrrev_i32_e32 v93, v205, v214
	v_lshrrev_b32_e32 v184, v204, v183
	v_and_b32_e32 v93, 0xf0f0f0f, v93
	v_lshlrev_b32_e32 v184, 4, v184
	v_and_or_b32 v93, v184, 16, v93
	v_lshrrev_b32_e32 v184, v206, v183
	v_lshrrev_b32_e32 v185, v207, v183
	;; [unrolled: 1-line block ×3, first 2 shown]
	v_lshlrev_b32_e32 v184, 12, v184
	v_lshlrev_b32_e32 v185, 20, v185
	;; [unrolled: 1-line block ×3, first 2 shown]
	v_and_or_b32 v184, v184, s30, v93
	v_and_b32_e32 v185, 0x100000, v185
	v_and_b32_e32 v183, 0x10000000, v183
	v_or3_b32 v183, v185, v183, v184
	v_lshrrev_b32_e32 v184, 8, v184
	v_and_b32_e32 v93, 31, v93
	v_and_b32_e32 v184, 31, v184
	v_cvt_f16_u16_e32 v93, v93
	v_cvt_f16_u16_e32 v184, v184
	v_pack_b32_f16 v93, v93, v184
	v_and_b32_sdwa v184, v183, v210 dst_sel:DWORD dst_unused:UNUSED_PAD src0_sel:WORD_1 src1_sel:DWORD
	v_cvt_f16_u16_sdwa v183, v183 dst_sel:DWORD dst_unused:UNUSED_PAD src0_sel:BYTE_3
	v_cvt_f16_u16_e32 v184, v184
	v_mul_u32_u24_sdwa v185, v182, s51 dst_sel:DWORD dst_unused:UNUSED_PAD src0_sel:WORD_0 src1_sel:DWORD
	v_mul_u32_u24_sdwa v182, v182, s51 dst_sel:DWORD dst_unused:UNUSED_PAD src0_sel:WORD_1 src1_sel:DWORD
	v_pack_b32_f16 v183, v184, v183
	v_pk_fma_f16 v93, v93, v185, v182
	v_pk_fma_f16 v211, v183, v185, v182
	v_lshl_add_u64 v[182:183], s[40:41], 0, v[154:155]
	v_mad_u64_u32 v[184:185], s[12:13], v174, 24, v[182:183]
	v_mad_u64_u32 v[182:183], s[12:13], v172, 24, v[182:183]
	v_lshl_add_u64 v[186:187], v[184:185], 0, v[106:107]
	v_lshl_add_u64 v[188:189], v[182:183], 0, v[108:109]
	global_load_dword v186, v[186:187], off offset:8
	s_nop 0
	global_load_dword v188, v[188:189], off offset:8
	s_nop 0
	global_load_dwordx2 v[182:183], v[182:183], off
	s_nop 0
	global_load_dwordx2 v[184:185], v[184:185], off
	v_pk_fma_f16 v54, v93, v42, v54
	v_pk_fma_f16 v50, v93, v46, v50
	v_pk_fma_f16 v55, v211, v42, v55
	v_pk_fma_f16 v51, v211, v46, v51
	v_mul_u32_u24_sdwa v42, v43, s51 dst_sel:DWORD dst_unused:UNUSED_PAD src0_sel:WORD_0 src1_sel:DWORD
	v_mul_u32_u24_sdwa v46, v47, s51 dst_sel:DWORD dst_unused:UNUSED_PAD src0_sel:WORD_0 src1_sel:DWORD
	ds_write_b128 v195, v[52:55]
	ds_write_b128 v195, v[48:51] offset:16
	s_waitcnt vmcnt(7)
	v_ashrrev_i32_e32 v93, v205, v212
	v_and_b32_e32 v93, 0xf0f0f0f, v93
	s_waitcnt vmcnt(4)
	v_lshrrev_b32_e32 v187, v204, v45
	v_lshlrev_b32_e32 v187, 4, v187
	v_and_or_b32 v93, v187, 16, v93
	v_lshrrev_b32_e32 v187, v206, v45
	v_lshrrev_b32_e32 v189, v207, v45
	;; [unrolled: 1-line block ×3, first 2 shown]
	v_lshlrev_b32_e32 v187, 12, v187
	v_lshlrev_b32_e32 v189, 20, v189
	;; [unrolled: 1-line block ×3, first 2 shown]
	v_and_or_b32 v187, v187, s30, v93
	v_and_b32_e32 v189, 0x100000, v189
	v_and_b32_e32 v45, 0x10000000, v45
	v_or3_b32 v45, v189, v45, v187
	v_lshrrev_b32_e32 v187, 8, v187
	v_and_b32_e32 v93, 31, v93
	v_and_b32_e32 v187, 31, v187
	v_cvt_f16_u16_e32 v93, v93
	v_cvt_f16_u16_e32 v187, v187
	v_pack_b32_f16 v93, v93, v187
	v_and_b32_sdwa v187, v45, v210 dst_sel:DWORD dst_unused:UNUSED_PAD src0_sel:WORD_1 src1_sel:DWORD
	v_cvt_f16_u16_sdwa v45, v45 dst_sel:DWORD dst_unused:UNUSED_PAD src0_sel:BYTE_3
	v_cvt_f16_u16_e32 v187, v187
	v_mul_u32_u24_sdwa v189, v44, s51 dst_sel:DWORD dst_unused:UNUSED_PAD src0_sel:WORD_0 src1_sel:DWORD
	v_mul_u32_u24_sdwa v44, v44, s51 dst_sel:DWORD dst_unused:UNUSED_PAD src0_sel:WORD_1 src1_sel:DWORD
	v_pack_b32_f16 v45, v187, v45
	v_pk_fma_f16 v93, v93, v189, v44
	v_pk_fma_f16 v44, v45, v189, v44
	v_lshrrev_b32_e32 v45, v204, v41
	v_pk_fma_f16 v53, v44, v42, v53
	v_pk_fma_f16 v49, v44, v46, v49
	v_ashrrev_i32_e32 v44, v205, v213
	v_and_b32_e32 v44, 0xf0f0f0f, v44
	v_lshlrev_b32_e32 v45, 4, v45
	v_pk_fma_f16 v52, v93, v42, v52
	v_pk_fma_f16 v48, v93, v46, v48
	v_and_or_b32 v44, v45, 16, v44
	v_lshrrev_b32_e32 v45, v206, v41
	v_lshrrev_b32_e32 v93, v207, v41
	;; [unrolled: 1-line block ×3, first 2 shown]
	v_lshlrev_b32_e32 v45, 12, v45
	v_lshlrev_b32_e32 v93, 20, v93
	;; [unrolled: 1-line block ×3, first 2 shown]
	v_and_or_b32 v45, v45, s30, v44
	v_and_b32_e32 v93, 0x100000, v93
	v_and_b32_e32 v41, 0x10000000, v41
	v_or3_b32 v41, v93, v41, v45
	v_lshrrev_b32_e32 v45, 8, v45
	v_and_b32_e32 v44, 31, v44
	v_and_b32_e32 v45, 31, v45
	v_cvt_f16_u16_e32 v44, v44
	v_cvt_f16_u16_e32 v45, v45
	v_pack_b32_f16 v44, v44, v45
	v_and_b32_sdwa v45, v41, v210 dst_sel:DWORD dst_unused:UNUSED_PAD src0_sel:WORD_1 src1_sel:DWORD
	v_cvt_f16_u16_sdwa v41, v41 dst_sel:DWORD dst_unused:UNUSED_PAD src0_sel:BYTE_3
	v_cvt_f16_u16_e32 v45, v45
	v_mul_u32_u24_sdwa v93, v40, s51 dst_sel:DWORD dst_unused:UNUSED_PAD src0_sel:WORD_0 src1_sel:DWORD
	v_mul_u32_u24_sdwa v40, v40, s51 dst_sel:DWORD dst_unused:UNUSED_PAD src0_sel:WORD_1 src1_sel:DWORD
	v_pack_b32_f16 v41, v45, v41
	v_pk_fma_f16 v44, v44, v93, v40
	v_pk_fma_f16 v40, v41, v93, v40
	;; [unrolled: 1-line block ×5, first 2 shown]
	s_waitcnt vmcnt(3)
	v_ashrrev_i32_e32 v40, v205, v186
	v_and_b32_e32 v211, 0xf0f0f0f, v40
	v_pk_fma_f16 v50, v44, v46, v50
	s_waitcnt vmcnt(0)
	v_lshrrev_b32_e32 v40, v204, v185
	v_lshlrev_b32_e32 v212, 4, v40
	v_lshl_add_u64 v[40:41], s[40:41], 0, v[156:157]
	v_mul_u32_u24_sdwa v93, v43, s51 dst_sel:DWORD dst_unused:UNUSED_PAD src0_sel:WORD_1 src1_sel:DWORD
	v_mad_u64_u32 v[42:43], s[12:13], v174, 24, v[40:41]
	ds_write_b128 v195, v[52:55]
	ds_write_b128 v195, v[48:51] offset:16
	v_lshl_add_u64 v[44:45], v[42:43], 0, v[106:107]
	v_mad_u64_u32 v[40:41], s[12:13], v172, 24, v[40:41]
	v_mul_u32_u24_sdwa v189, v47, s51 dst_sel:DWORD dst_unused:UNUSED_PAD src0_sel:WORD_1 src1_sel:DWORD
	v_lshl_add_u64 v[46:47], v[40:41], 0, v[108:109]
	global_load_dword v213, v[44:45], off offset:8
	global_load_dword v214, v[46:47], off offset:8
	global_load_dwordx2 v[186:187], v[40:41], off
	s_nop 0
	global_load_dwordx2 v[44:45], v[42:43], off
	v_lshrrev_b32_e32 v41, v206, v185
	v_lshrrev_b32_e32 v42, v207, v185
	v_lshrrev_b32_e32 v43, v208, v185
	v_and_or_b32 v40, v212, 16, v211
	v_lshlrev_b32_e32 v41, 12, v41
	v_lshlrev_b32_e32 v42, 20, v42
	;; [unrolled: 1-line block ×3, first 2 shown]
	v_and_or_b32 v41, v41, s30, v40
	v_and_b32_e32 v42, 0x100000, v42
	v_and_b32_e32 v43, 0x10000000, v43
	v_or3_b32 v42, v42, v43, v41
	v_lshrrev_b32_e32 v41, 8, v41
	v_and_b32_e32 v40, 31, v40
	v_and_b32_e32 v41, 31, v41
	v_cvt_f16_u16_e32 v40, v40
	v_cvt_f16_u16_e32 v41, v41
	v_mul_u32_u24_sdwa v43, v184, s51 dst_sel:DWORD dst_unused:UNUSED_PAD src0_sel:WORD_0 src1_sel:DWORD
	v_mul_u32_u24_sdwa v46, v184, s51 dst_sel:DWORD dst_unused:UNUSED_PAD src0_sel:WORD_1 src1_sel:DWORD
	v_pack_b32_f16 v40, v40, v41
	v_pk_fma_f16 v41, v40, v43, v46
	v_and_b32_sdwa v40, v42, v210 dst_sel:DWORD dst_unused:UNUSED_PAD src0_sel:WORD_1 src1_sel:DWORD
	v_cvt_f16_u16_sdwa v42, v42 dst_sel:DWORD dst_unused:UNUSED_PAD src0_sel:BYTE_3
	v_cvt_f16_u16_e32 v40, v40
	v_pack_b32_f16 v40, v40, v42
	v_pk_fma_f16 v42, v40, v43, v46
	v_pk_fma_f16 v40, v41, v93, v52
	;; [unrolled: 1-line block ×5, first 2 shown]
	v_ashrrev_i32_e32 v42, v205, v188
	v_lshrrev_b32_e32 v43, v204, v183
	v_and_b32_e32 v42, 0xf0f0f0f, v42
	v_lshlrev_b32_e32 v43, 4, v43
	v_and_or_b32 v42, v43, 16, v42
	v_lshrrev_b32_e32 v43, v206, v183
	v_lshrrev_b32_e32 v48, v207, v183
	;; [unrolled: 1-line block ×3, first 2 shown]
	v_lshlrev_b32_e32 v43, 12, v43
	v_lshlrev_b32_e32 v48, 20, v48
	;; [unrolled: 1-line block ×3, first 2 shown]
	v_and_or_b32 v43, v43, s30, v42
	v_and_b32_e32 v48, 0x100000, v48
	v_and_b32_e32 v49, 0x10000000, v49
	v_or3_b32 v48, v48, v49, v43
	v_lshrrev_b32_e32 v43, 8, v43
	v_and_b32_e32 v42, 31, v42
	v_and_b32_e32 v43, 31, v43
	v_cvt_f16_u16_e32 v42, v42
	v_cvt_f16_u16_e32 v43, v43
	v_mul_u32_u24_sdwa v49, v182, s51 dst_sel:DWORD dst_unused:UNUSED_PAD src0_sel:WORD_0 src1_sel:DWORD
	v_mul_u32_u24_sdwa v52, v182, s51 dst_sel:DWORD dst_unused:UNUSED_PAD src0_sel:WORD_1 src1_sel:DWORD
	v_pack_b32_f16 v42, v42, v43
	v_pk_fma_f16 v43, v42, v49, v52
	v_and_b32_sdwa v42, v48, v210 dst_sel:DWORD dst_unused:UNUSED_PAD src0_sel:WORD_1 src1_sel:DWORD
	v_cvt_f16_u16_sdwa v48, v48 dst_sel:DWORD dst_unused:UNUSED_PAD src0_sel:BYTE_3
	v_cvt_f16_u16_e32 v42, v42
	v_pack_b32_f16 v42, v42, v48
	v_pk_fma_f16 v188, v42, v49, v52
	v_lshl_add_u64 v[48:49], s[40:41], 0, v[158:159]
	v_mad_u64_u32 v[52:53], s[12:13], v174, 24, v[48:49]
	v_lshl_add_u64 v[182:183], v[52:53], 0, v[106:107]
	v_mad_u64_u32 v[48:49], s[12:13], v172, 24, v[48:49]
	v_pk_fma_f16 v42, v43, v93, v54
	v_lshl_add_u64 v[184:185], v[48:49], 0, v[108:109]
	global_load_dword v54, v[182:183], off offset:8
	global_load_dword v211, v[184:185], off offset:8
	s_nop 0
	global_load_dwordx2 v[182:183], v[48:49], off
	s_nop 0
	global_load_dwordx2 v[52:53], v[52:53], off
	v_pk_fma_f16 v48, v43, v189, v50
	v_pk_fma_f16 v43, v188, v93, v55
	;; [unrolled: 1-line block ×3, first 2 shown]
	s_waitcnt lgkmcnt(14)
	v_mul_u32_u24_sdwa v50, v32, s51 dst_sel:DWORD dst_unused:UNUSED_PAD src0_sel:WORD_0 src1_sel:DWORD
	v_mul_u32_u24_sdwa v51, v36, s51 dst_sel:DWORD dst_unused:UNUSED_PAD src0_sel:WORD_0 src1_sel:DWORD
	ds_write_b128 v195, v[40:43]
	ds_write_b128 v195, v[46:49] offset:16
	v_mul_u32_u24_sdwa v32, v32, s51 dst_sel:DWORD dst_unused:UNUSED_PAD src0_sel:WORD_1 src1_sel:DWORD
	v_mul_u32_u24_sdwa v36, v36, s51 dst_sel:DWORD dst_unused:UNUSED_PAD src0_sel:WORD_1 src1_sel:DWORD
	s_waitcnt vmcnt(7)
	v_ashrrev_i32_e32 v55, v205, v213
	v_and_b32_e32 v55, 0xf0f0f0f, v55
	s_waitcnt vmcnt(4)
	v_lshrrev_b32_e32 v93, v204, v45
	v_lshlrev_b32_e32 v93, 4, v93
	v_and_or_b32 v55, v93, 16, v55
	v_lshrrev_b32_e32 v93, v206, v45
	v_lshrrev_b32_e32 v184, v207, v45
	;; [unrolled: 1-line block ×3, first 2 shown]
	v_lshlrev_b32_e32 v93, 12, v93
	v_lshlrev_b32_e32 v184, 20, v184
	;; [unrolled: 1-line block ×3, first 2 shown]
	v_and_or_b32 v93, v93, s30, v55
	v_and_b32_e32 v184, 0x100000, v184
	v_and_b32_e32 v45, 0x10000000, v45
	v_or3_b32 v45, v184, v45, v93
	v_lshrrev_b32_e32 v93, 8, v93
	v_and_b32_e32 v55, 31, v55
	v_and_b32_e32 v93, 31, v93
	v_cvt_f16_u16_e32 v55, v55
	v_cvt_f16_u16_e32 v93, v93
	v_pack_b32_f16 v55, v55, v93
	v_and_b32_sdwa v93, v45, v210 dst_sel:DWORD dst_unused:UNUSED_PAD src0_sel:WORD_1 src1_sel:DWORD
	v_cvt_f16_u16_sdwa v45, v45 dst_sel:DWORD dst_unused:UNUSED_PAD src0_sel:BYTE_3
	v_cvt_f16_u16_e32 v93, v93
	v_mul_u32_u24_sdwa v184, v44, s51 dst_sel:DWORD dst_unused:UNUSED_PAD src0_sel:WORD_0 src1_sel:DWORD
	v_mul_u32_u24_sdwa v44, v44, s51 dst_sel:DWORD dst_unused:UNUSED_PAD src0_sel:WORD_1 src1_sel:DWORD
	v_pack_b32_f16 v45, v93, v45
	v_pk_fma_f16 v55, v55, v184, v44
	v_pk_fma_f16 v93, v45, v184, v44
	;; [unrolled: 1-line block ×6, first 2 shown]
	v_ashrrev_i32_e32 v46, v205, v214
	v_lshrrev_b32_e32 v47, v204, v187
	v_and_b32_e32 v46, 0xf0f0f0f, v46
	v_lshlrev_b32_e32 v47, 4, v47
	v_and_or_b32 v46, v47, 16, v46
	v_lshrrev_b32_e32 v47, v206, v187
	v_lshrrev_b32_e32 v55, v207, v187
	;; [unrolled: 1-line block ×3, first 2 shown]
	v_lshlrev_b32_e32 v47, 12, v47
	v_lshlrev_b32_e32 v55, 20, v55
	;; [unrolled: 1-line block ×3, first 2 shown]
	v_and_or_b32 v47, v47, s30, v46
	v_and_b32_e32 v55, 0x100000, v55
	v_and_b32_e32 v93, 0x10000000, v93
	v_or3_b32 v55, v55, v93, v47
	v_lshrrev_b32_e32 v47, 8, v47
	v_and_b32_e32 v46, 31, v46
	v_and_b32_e32 v47, 31, v47
	v_cvt_f16_u16_e32 v46, v46
	v_cvt_f16_u16_e32 v47, v47
	v_mul_u32_u24_sdwa v93, v186, s51 dst_sel:DWORD dst_unused:UNUSED_PAD src0_sel:WORD_0 src1_sel:DWORD
	v_mul_u32_u24_sdwa v184, v186, s51 dst_sel:DWORD dst_unused:UNUSED_PAD src0_sel:WORD_1 src1_sel:DWORD
	v_pack_b32_f16 v46, v46, v47
	v_pk_fma_f16 v47, v46, v93, v184
	v_and_b32_sdwa v46, v55, v210 dst_sel:DWORD dst_unused:UNUSED_PAD src0_sel:WORD_1 src1_sel:DWORD
	v_cvt_f16_u16_sdwa v55, v55 dst_sel:DWORD dst_unused:UNUSED_PAD src0_sel:BYTE_3
	v_cvt_f16_u16_e32 v46, v46
	v_pack_b32_f16 v46, v46, v55
	v_pk_fma_f16 v55, v46, v93, v184
	v_pk_fma_f16 v46, v47, v50, v42
	;; [unrolled: 1-line block ×5, first 2 shown]
	s_waitcnt vmcnt(3)
	v_ashrrev_i32_e32 v48, v205, v54
	v_and_b32_e32 v93, 0xf0f0f0f, v48
	ds_write_b128 v195, v[44:47]
	s_waitcnt vmcnt(0)
	v_lshrrev_b32_e32 v48, v204, v53
	v_lshlrev_b32_e32 v186, 4, v48
	v_lshl_add_u64 v[48:49], s[40:41], 0, v[160:161]
	v_mad_u64_u32 v[50:51], s[12:13], v174, 24, v[48:49]
	ds_write_b128 v195, v[40:43] offset:16
	v_lshl_add_u64 v[54:55], v[50:51], 0, v[106:107]
	v_mad_u64_u32 v[48:49], s[12:13], v172, 24, v[48:49]
	v_lshl_add_u64 v[184:185], v[48:49], 0, v[108:109]
	global_load_dword v187, v[54:55], off offset:8
	global_load_dword v188, v[184:185], off offset:8
	s_nop 0
	global_load_dwordx2 v[48:49], v[48:49], off
	s_nop 0
	global_load_dwordx2 v[50:51], v[50:51], off
	v_and_or_b32 v54, v186, 16, v93
	v_lshrrev_b32_e32 v55, v206, v53
	v_lshrrev_b32_e32 v93, v207, v53
	v_lshrrev_b32_e32 v53, v208, v53
	v_lshlrev_b32_e32 v55, 12, v55
	v_lshlrev_b32_e32 v93, 20, v93
	;; [unrolled: 1-line block ×3, first 2 shown]
	v_and_or_b32 v55, v55, s30, v54
	v_and_b32_e32 v93, 0x100000, v93
	v_and_b32_e32 v53, 0x10000000, v53
	v_or3_b32 v53, v93, v53, v55
	v_lshrrev_b32_e32 v55, 8, v55
	v_and_b32_e32 v54, 31, v54
	v_and_b32_e32 v55, 31, v55
	v_cvt_f16_u16_e32 v54, v54
	v_cvt_f16_u16_e32 v55, v55
	v_pack_b32_f16 v54, v54, v55
	v_and_b32_sdwa v55, v53, v210 dst_sel:DWORD dst_unused:UNUSED_PAD src0_sel:WORD_1 src1_sel:DWORD
	v_cvt_f16_u16_sdwa v53, v53 dst_sel:DWORD dst_unused:UNUSED_PAD src0_sel:BYTE_3
	v_cvt_f16_u16_e32 v55, v55
	v_mul_u32_u24_sdwa v93, v52, s51 dst_sel:DWORD dst_unused:UNUSED_PAD src0_sel:WORD_0 src1_sel:DWORD
	v_mul_u32_u24_sdwa v52, v52, s51 dst_sel:DWORD dst_unused:UNUSED_PAD src0_sel:WORD_1 src1_sel:DWORD
	v_pack_b32_f16 v53, v55, v53
	v_pk_fma_f16 v54, v54, v93, v52
	v_pk_fma_f16 v52, v53, v93, v52
	v_lshrrev_b32_e32 v53, v204, v183
	v_pk_fma_f16 v45, v52, v32, v45
	v_pk_fma_f16 v41, v52, v36, v41
	v_ashrrev_i32_e32 v52, v205, v211
	v_and_b32_e32 v52, 0xf0f0f0f, v52
	v_lshlrev_b32_e32 v53, 4, v53
	v_pk_fma_f16 v44, v54, v32, v44
	v_pk_fma_f16 v40, v54, v36, v40
	v_and_or_b32 v52, v53, 16, v52
	v_lshrrev_b32_e32 v53, v206, v183
	v_lshrrev_b32_e32 v54, v207, v183
	;; [unrolled: 1-line block ×3, first 2 shown]
	v_lshlrev_b32_e32 v53, 12, v53
	v_lshlrev_b32_e32 v54, 20, v54
	v_lshlrev_b32_e32 v55, 28, v55
	v_and_or_b32 v53, v53, s30, v52
	v_and_b32_e32 v54, 0x100000, v54
	v_and_b32_e32 v55, 0x10000000, v55
	v_or3_b32 v54, v54, v55, v53
	v_lshrrev_b32_e32 v53, 8, v53
	v_and_b32_e32 v52, 31, v52
	v_and_b32_e32 v53, 31, v53
	v_cvt_f16_u16_e32 v52, v52
	v_cvt_f16_u16_e32 v53, v53
	v_mul_u32_u24_sdwa v55, v182, s51 dst_sel:DWORD dst_unused:UNUSED_PAD src0_sel:WORD_0 src1_sel:DWORD
	v_mul_u32_u24_sdwa v93, v182, s51 dst_sel:DWORD dst_unused:UNUSED_PAD src0_sel:WORD_1 src1_sel:DWORD
	v_pack_b32_f16 v52, v52, v53
	v_pk_fma_f16 v186, v52, v55, v93
	v_and_b32_sdwa v52, v54, v210 dst_sel:DWORD dst_unused:UNUSED_PAD src0_sel:WORD_1 src1_sel:DWORD
	v_cvt_f16_u16_sdwa v53, v54 dst_sel:DWORD dst_unused:UNUSED_PAD src0_sel:BYTE_3
	v_cvt_f16_u16_e32 v52, v52
	v_pack_b32_f16 v52, v52, v53
	v_pk_fma_f16 v93, v52, v55, v93
	v_lshl_add_u64 v[52:53], s[40:41], 0, v[162:163]
	v_mad_u64_u32 v[54:55], s[12:13], v174, 24, v[52:53]
	v_lshl_add_u64 v[182:183], v[54:55], 0, v[106:107]
	v_mad_u64_u32 v[52:53], s[12:13], v172, 24, v[52:53]
	v_lshl_add_u64 v[184:185], v[52:53], 0, v[108:109]
	global_load_dword v182, v[182:183], off offset:8
	s_nop 0
	global_load_dword v183, v[184:185], off offset:8
	s_nop 0
	global_load_dwordx2 v[52:53], v[52:53], off
	s_nop 0
	global_load_dwordx2 v[54:55], v[54:55], off
	v_pk_fma_f16 v47, v93, v32, v47
	v_pk_fma_f16 v43, v93, v36, v43
	;; [unrolled: 1-line block ×4, first 2 shown]
	v_mul_u32_u24_sdwa v32, v33, s51 dst_sel:DWORD dst_unused:UNUSED_PAD src0_sel:WORD_0 src1_sel:DWORD
	v_mul_u32_u24_sdwa v36, v37, s51 dst_sel:DWORD dst_unused:UNUSED_PAD src0_sel:WORD_0 src1_sel:DWORD
	ds_write_b128 v195, v[44:47]
	ds_write_b128 v195, v[40:43] offset:16
	s_waitcnt vmcnt(7)
	v_ashrrev_i32_e32 v93, v205, v187
	v_and_b32_e32 v93, 0xf0f0f0f, v93
	s_waitcnt vmcnt(4)
	v_lshrrev_b32_e32 v184, v204, v51
	v_lshlrev_b32_e32 v184, 4, v184
	v_and_or_b32 v93, v184, 16, v93
	v_lshrrev_b32_e32 v184, v206, v51
	v_lshrrev_b32_e32 v185, v207, v51
	;; [unrolled: 1-line block ×3, first 2 shown]
	v_lshlrev_b32_e32 v184, 12, v184
	v_lshlrev_b32_e32 v185, 20, v185
	;; [unrolled: 1-line block ×3, first 2 shown]
	v_and_or_b32 v184, v184, s30, v93
	v_and_b32_e32 v185, 0x100000, v185
	v_and_b32_e32 v51, 0x10000000, v51
	v_or3_b32 v51, v185, v51, v184
	v_lshrrev_b32_e32 v184, 8, v184
	v_and_b32_e32 v93, 31, v93
	v_and_b32_e32 v184, 31, v184
	v_cvt_f16_u16_e32 v93, v93
	v_cvt_f16_u16_e32 v184, v184
	v_pack_b32_f16 v93, v93, v184
	v_and_b32_sdwa v184, v51, v210 dst_sel:DWORD dst_unused:UNUSED_PAD src0_sel:WORD_1 src1_sel:DWORD
	v_cvt_f16_u16_sdwa v51, v51 dst_sel:DWORD dst_unused:UNUSED_PAD src0_sel:BYTE_3
	v_cvt_f16_u16_e32 v184, v184
	v_mul_u32_u24_sdwa v185, v50, s51 dst_sel:DWORD dst_unused:UNUSED_PAD src0_sel:WORD_0 src1_sel:DWORD
	v_mul_u32_u24_sdwa v50, v50, s51 dst_sel:DWORD dst_unused:UNUSED_PAD src0_sel:WORD_1 src1_sel:DWORD
	v_pack_b32_f16 v51, v184, v51
	v_pk_fma_f16 v93, v93, v185, v50
	v_pk_fma_f16 v50, v51, v185, v50
	v_lshrrev_b32_e32 v51, v204, v49
	v_pk_fma_f16 v45, v50, v32, v45
	v_pk_fma_f16 v41, v50, v36, v41
	v_ashrrev_i32_e32 v50, v205, v188
	v_and_b32_e32 v50, 0xf0f0f0f, v50
	v_lshlrev_b32_e32 v51, 4, v51
	v_pk_fma_f16 v44, v93, v32, v44
	v_pk_fma_f16 v40, v93, v36, v40
	v_and_or_b32 v50, v51, 16, v50
	v_lshrrev_b32_e32 v51, v206, v49
	v_lshrrev_b32_e32 v93, v207, v49
	;; [unrolled: 1-line block ×3, first 2 shown]
	v_lshlrev_b32_e32 v51, 12, v51
	v_lshlrev_b32_e32 v93, 20, v93
	;; [unrolled: 1-line block ×3, first 2 shown]
	v_and_or_b32 v51, v51, s30, v50
	v_and_b32_e32 v93, 0x100000, v93
	v_and_b32_e32 v49, 0x10000000, v49
	v_or3_b32 v49, v93, v49, v51
	v_lshrrev_b32_e32 v51, 8, v51
	v_and_b32_e32 v50, 31, v50
	v_and_b32_e32 v51, 31, v51
	v_cvt_f16_u16_e32 v50, v50
	v_cvt_f16_u16_e32 v51, v51
	v_pack_b32_f16 v50, v50, v51
	v_and_b32_sdwa v51, v49, v210 dst_sel:DWORD dst_unused:UNUSED_PAD src0_sel:WORD_1 src1_sel:DWORD
	v_cvt_f16_u16_sdwa v49, v49 dst_sel:DWORD dst_unused:UNUSED_PAD src0_sel:BYTE_3
	v_cvt_f16_u16_e32 v51, v51
	v_mul_u32_u24_sdwa v93, v48, s51 dst_sel:DWORD dst_unused:UNUSED_PAD src0_sel:WORD_0 src1_sel:DWORD
	v_mul_u32_u24_sdwa v48, v48, s51 dst_sel:DWORD dst_unused:UNUSED_PAD src0_sel:WORD_1 src1_sel:DWORD
	v_pack_b32_f16 v49, v51, v49
	v_pk_fma_f16 v50, v50, v93, v48
	v_pk_fma_f16 v48, v49, v93, v48
	;; [unrolled: 1-line block ×4, first 2 shown]
	v_mul_u32_u24_sdwa v93, v33, s51 dst_sel:DWORD dst_unused:UNUSED_PAD src0_sel:WORD_1 src1_sel:DWORD
	s_waitcnt vmcnt(3)
	v_ashrrev_i32_e32 v32, v205, v182
	v_and_b32_e32 v182, 0xf0f0f0f, v32
	v_pk_fma_f16 v42, v50, v36, v42
	s_waitcnt vmcnt(0)
	v_lshrrev_b32_e32 v32, v204, v55
	v_lshlrev_b32_e32 v185, 4, v32
	v_lshl_add_u64 v[32:33], s[40:41], 0, v[164:165]
	v_pk_fma_f16 v43, v48, v36, v43
	v_mul_u32_u24_sdwa v184, v37, s51 dst_sel:DWORD dst_unused:UNUSED_PAD src0_sel:WORD_1 src1_sel:DWORD
	v_mad_u64_u32 v[36:37], s[12:13], v174, 24, v[32:33]
	v_mad_u64_u32 v[32:33], s[12:13], v172, 24, v[32:33]
	ds_write_b128 v195, v[44:47]
	ds_write_b128 v195, v[40:43] offset:16
	v_lshl_add_u64 v[48:49], v[36:37], 0, v[106:107]
	v_lshl_add_u64 v[50:51], v[32:33], 0, v[108:109]
	global_load_dword v186, v[48:49], off offset:8
	global_load_dword v187, v[50:51], off offset:8
	s_nop 0
	global_load_dwordx2 v[32:33], v[32:33], off
	s_nop 0
	global_load_dwordx2 v[36:37], v[36:37], off
	v_lshrrev_b32_e32 v49, v206, v55
	v_lshrrev_b32_e32 v50, v207, v55
	;; [unrolled: 1-line block ×3, first 2 shown]
	v_and_or_b32 v48, v185, 16, v182
	v_lshlrev_b32_e32 v49, 12, v49
	v_lshlrev_b32_e32 v50, 20, v50
	v_lshlrev_b32_e32 v51, 28, v51
	v_and_or_b32 v49, v49, s30, v48
	v_and_b32_e32 v50, 0x100000, v50
	v_and_b32_e32 v51, 0x10000000, v51
	v_or3_b32 v50, v50, v51, v49
	v_lshrrev_b32_e32 v49, 8, v49
	v_and_b32_e32 v48, 31, v48
	v_and_b32_e32 v49, 31, v49
	v_cvt_f16_u16_e32 v48, v48
	v_cvt_f16_u16_e32 v49, v49
	v_pack_b32_f16 v48, v48, v49
	v_and_b32_sdwa v49, v50, v210 dst_sel:DWORD dst_unused:UNUSED_PAD src0_sel:WORD_1 src1_sel:DWORD
	v_cvt_f16_u16_sdwa v50, v50 dst_sel:DWORD dst_unused:UNUSED_PAD src0_sel:BYTE_3
	v_cvt_f16_u16_e32 v49, v49
	v_mul_u32_u24_sdwa v51, v54, s51 dst_sel:DWORD dst_unused:UNUSED_PAD src0_sel:WORD_0 src1_sel:DWORD
	v_mul_u32_u24_sdwa v54, v54, s51 dst_sel:DWORD dst_unused:UNUSED_PAD src0_sel:WORD_1 src1_sel:DWORD
	v_pack_b32_f16 v49, v49, v50
	v_pk_fma_f16 v48, v48, v51, v54
	v_pk_fma_f16 v49, v49, v51, v54
	v_pk_fma_f16 v44, v48, v93, v44
	v_pk_fma_f16 v40, v48, v184, v40
	v_pk_fma_f16 v45, v49, v93, v45
	v_pk_fma_f16 v41, v49, v184, v41
	v_ashrrev_i32_e32 v48, v205, v183
	v_lshrrev_b32_e32 v49, v204, v53
	v_and_b32_e32 v48, 0xf0f0f0f, v48
	v_lshlrev_b32_e32 v49, 4, v49
	v_and_or_b32 v48, v49, 16, v48
	v_lshrrev_b32_e32 v49, v206, v53
	v_lshrrev_b32_e32 v50, v207, v53
	;; [unrolled: 1-line block ×3, first 2 shown]
	v_lshlrev_b32_e32 v49, 12, v49
	v_lshlrev_b32_e32 v50, 20, v50
	;; [unrolled: 1-line block ×3, first 2 shown]
	v_and_or_b32 v49, v49, s30, v48
	v_and_b32_e32 v50, 0x100000, v50
	v_and_b32_e32 v51, 0x10000000, v51
	v_or3_b32 v50, v50, v51, v49
	v_lshrrev_b32_e32 v49, 8, v49
	v_and_b32_e32 v48, 31, v48
	v_and_b32_e32 v49, 31, v49
	v_cvt_f16_u16_e32 v48, v48
	v_cvt_f16_u16_e32 v49, v49
	v_mul_u32_u24_sdwa v51, v52, s51 dst_sel:DWORD dst_unused:UNUSED_PAD src0_sel:WORD_0 src1_sel:DWORD
	v_mul_u32_u24_sdwa v52, v52, s51 dst_sel:DWORD dst_unused:UNUSED_PAD src0_sel:WORD_1 src1_sel:DWORD
	v_pack_b32_f16 v48, v48, v49
	v_pk_fma_f16 v182, v48, v51, v52
	v_and_b32_sdwa v48, v50, v210 dst_sel:DWORD dst_unused:UNUSED_PAD src0_sel:WORD_1 src1_sel:DWORD
	v_cvt_f16_u16_sdwa v49, v50 dst_sel:DWORD dst_unused:UNUSED_PAD src0_sel:BYTE_3
	v_cvt_f16_u16_e32 v48, v48
	v_pack_b32_f16 v48, v48, v49
	v_pk_fma_f16 v183, v48, v51, v52
	v_lshl_add_u64 v[48:49], s[40:41], 0, v[166:167]
	v_mad_u64_u32 v[50:51], s[12:13], v174, 24, v[48:49]
	v_lshl_add_u64 v[52:53], v[50:51], 0, v[106:107]
	v_mad_u64_u32 v[48:49], s[12:13], v172, 24, v[48:49]
	v_lshl_add_u64 v[54:55], v[48:49], 0, v[108:109]
	global_load_dword v52, v[52:53], off offset:8
	s_nop 0
	global_load_dword v185, v[54:55], off offset:8
	s_nop 0
	global_load_dwordx2 v[48:49], v[48:49], off
	s_nop 0
	global_load_dwordx2 v[50:51], v[50:51], off
	v_pk_fma_f16 v46, v182, v93, v46
	v_pk_fma_f16 v47, v183, v93, v47
	;; [unrolled: 1-line block ×4, first 2 shown]
	v_mul_u32_u24_sdwa v53, v34, s51 dst_sel:DWORD dst_unused:UNUSED_PAD src0_sel:WORD_0 src1_sel:DWORD
	v_mul_u32_u24_sdwa v54, v38, s51 dst_sel:DWORD dst_unused:UNUSED_PAD src0_sel:WORD_0 src1_sel:DWORD
	ds_write_b128 v195, v[44:47]
	ds_write_b128 v195, v[40:43] offset:16
	v_mul_u32_u24_sdwa v34, v34, s51 dst_sel:DWORD dst_unused:UNUSED_PAD src0_sel:WORD_1 src1_sel:DWORD
	v_mul_u32_u24_sdwa v38, v38, s51 dst_sel:DWORD dst_unused:UNUSED_PAD src0_sel:WORD_1 src1_sel:DWORD
	s_waitcnt vmcnt(7)
	v_ashrrev_i32_e32 v55, v205, v186
	v_and_b32_e32 v55, 0xf0f0f0f, v55
	s_waitcnt vmcnt(4)
	v_lshrrev_b32_e32 v93, v204, v37
	v_lshlrev_b32_e32 v93, 4, v93
	v_and_or_b32 v55, v93, 16, v55
	v_lshrrev_b32_e32 v93, v206, v37
	v_lshrrev_b32_e32 v182, v207, v37
	;; [unrolled: 1-line block ×3, first 2 shown]
	v_lshlrev_b32_e32 v93, 12, v93
	v_lshlrev_b32_e32 v182, 20, v182
	v_lshlrev_b32_e32 v37, 28, v37
	v_and_or_b32 v93, v93, s30, v55
	v_and_b32_e32 v182, 0x100000, v182
	v_and_b32_e32 v37, 0x10000000, v37
	v_or3_b32 v37, v182, v37, v93
	v_lshrrev_b32_e32 v93, 8, v93
	v_and_b32_e32 v55, 31, v55
	v_and_b32_e32 v93, 31, v93
	v_cvt_f16_u16_e32 v55, v55
	v_cvt_f16_u16_e32 v93, v93
	v_pack_b32_f16 v55, v55, v93
	v_and_b32_sdwa v93, v37, v210 dst_sel:DWORD dst_unused:UNUSED_PAD src0_sel:WORD_1 src1_sel:DWORD
	v_cvt_f16_u16_sdwa v37, v37 dst_sel:DWORD dst_unused:UNUSED_PAD src0_sel:BYTE_3
	v_cvt_f16_u16_e32 v93, v93
	v_mul_u32_u24_sdwa v182, v36, s51 dst_sel:DWORD dst_unused:UNUSED_PAD src0_sel:WORD_0 src1_sel:DWORD
	v_mul_u32_u24_sdwa v36, v36, s51 dst_sel:DWORD dst_unused:UNUSED_PAD src0_sel:WORD_1 src1_sel:DWORD
	v_pack_b32_f16 v37, v93, v37
	v_pk_fma_f16 v55, v55, v182, v36
	v_pk_fma_f16 v36, v37, v182, v36
	v_lshrrev_b32_e32 v37, v204, v33
	v_pk_fma_f16 v45, v36, v53, v45
	v_pk_fma_f16 v41, v36, v54, v41
	v_ashrrev_i32_e32 v36, v205, v187
	v_and_b32_e32 v36, 0xf0f0f0f, v36
	v_lshlrev_b32_e32 v37, 4, v37
	v_pk_fma_f16 v44, v55, v53, v44
	v_pk_fma_f16 v40, v55, v54, v40
	v_and_or_b32 v36, v37, 16, v36
	v_lshrrev_b32_e32 v37, v206, v33
	v_lshrrev_b32_e32 v55, v207, v33
	;; [unrolled: 1-line block ×3, first 2 shown]
	v_lshlrev_b32_e32 v37, 12, v37
	v_lshlrev_b32_e32 v55, 20, v55
	;; [unrolled: 1-line block ×3, first 2 shown]
	v_and_or_b32 v37, v37, s30, v36
	v_and_b32_e32 v55, 0x100000, v55
	v_and_b32_e32 v33, 0x10000000, v33
	v_or3_b32 v33, v55, v33, v37
	v_lshrrev_b32_e32 v37, 8, v37
	v_and_b32_e32 v36, 31, v36
	v_and_b32_e32 v37, 31, v37
	v_cvt_f16_u16_e32 v36, v36
	v_cvt_f16_u16_e32 v37, v37
	v_pack_b32_f16 v36, v36, v37
	v_and_b32_sdwa v37, v33, v210 dst_sel:DWORD dst_unused:UNUSED_PAD src0_sel:WORD_1 src1_sel:DWORD
	v_cvt_f16_u16_sdwa v33, v33 dst_sel:DWORD dst_unused:UNUSED_PAD src0_sel:BYTE_3
	v_cvt_f16_u16_e32 v37, v37
	v_mul_u32_u24_sdwa v55, v32, s51 dst_sel:DWORD dst_unused:UNUSED_PAD src0_sel:WORD_0 src1_sel:DWORD
	v_mul_u32_u24_sdwa v32, v32, s51 dst_sel:DWORD dst_unused:UNUSED_PAD src0_sel:WORD_1 src1_sel:DWORD
	v_pack_b32_f16 v33, v37, v33
	v_pk_fma_f16 v36, v36, v55, v32
	v_pk_fma_f16 v32, v33, v55, v32
	;; [unrolled: 1-line block ×5, first 2 shown]
	s_waitcnt vmcnt(3)
	v_ashrrev_i32_e32 v32, v205, v52
	v_and_b32_e32 v93, 0xf0f0f0f, v32
	v_pk_fma_f16 v42, v36, v54, v42
	s_waitcnt vmcnt(0)
	v_lshrrev_b32_e32 v32, v204, v51
	v_lshlrev_b32_e32 v182, 4, v32
	v_lshl_add_u64 v[32:33], s[40:41], 0, v[168:169]
	v_mad_u64_u32 v[36:37], s[12:13], v174, 24, v[32:33]
	v_mad_u64_u32 v[32:33], s[12:13], v172, 24, v[32:33]
	ds_write_b128 v195, v[44:47]
	ds_write_b128 v195, v[40:43] offset:16
	v_lshl_add_u64 v[52:53], v[36:37], 0, v[106:107]
	v_lshl_add_u64 v[54:55], v[32:33], 0, v[108:109]
	global_load_dword v183, v[52:53], off offset:8
	global_load_dword v184, v[54:55], off offset:8
	s_nop 0
	global_load_dwordx2 v[32:33], v[32:33], off
	s_nop 0
	global_load_dwordx2 v[36:37], v[36:37], off
	v_lshrrev_b32_e32 v53, v206, v51
	v_lshrrev_b32_e32 v54, v207, v51
	;; [unrolled: 1-line block ×3, first 2 shown]
	v_and_or_b32 v52, v182, 16, v93
	v_lshlrev_b32_e32 v53, 12, v53
	v_lshlrev_b32_e32 v54, 20, v54
	;; [unrolled: 1-line block ×3, first 2 shown]
	v_and_or_b32 v53, v53, s30, v52
	v_and_b32_e32 v54, 0x100000, v54
	v_and_b32_e32 v51, 0x10000000, v51
	v_or3_b32 v51, v54, v51, v53
	v_lshrrev_b32_e32 v53, 8, v53
	v_and_b32_e32 v52, 31, v52
	v_and_b32_e32 v53, 31, v53
	v_cvt_f16_u16_e32 v52, v52
	v_cvt_f16_u16_e32 v53, v53
	v_pack_b32_f16 v52, v52, v53
	v_and_b32_sdwa v53, v51, v210 dst_sel:DWORD dst_unused:UNUSED_PAD src0_sel:WORD_1 src1_sel:DWORD
	v_cvt_f16_u16_sdwa v51, v51 dst_sel:DWORD dst_unused:UNUSED_PAD src0_sel:BYTE_3
	v_cvt_f16_u16_e32 v53, v53
	v_mul_u32_u24_sdwa v54, v50, s51 dst_sel:DWORD dst_unused:UNUSED_PAD src0_sel:WORD_0 src1_sel:DWORD
	v_mul_u32_u24_sdwa v50, v50, s51 dst_sel:DWORD dst_unused:UNUSED_PAD src0_sel:WORD_1 src1_sel:DWORD
	v_pack_b32_f16 v51, v53, v51
	v_pk_fma_f16 v52, v52, v54, v50
	v_pk_fma_f16 v50, v51, v54, v50
	v_lshrrev_b32_e32 v51, v204, v49
	v_pk_fma_f16 v45, v50, v34, v45
	v_pk_fma_f16 v41, v50, v38, v41
	v_ashrrev_i32_e32 v50, v205, v185
	v_and_b32_e32 v50, 0xf0f0f0f, v50
	v_lshlrev_b32_e32 v51, 4, v51
	v_pk_fma_f16 v44, v52, v34, v44
	v_pk_fma_f16 v40, v52, v38, v40
	v_and_or_b32 v50, v51, 16, v50
	v_lshrrev_b32_e32 v51, v206, v49
	v_lshrrev_b32_e32 v52, v207, v49
	;; [unrolled: 1-line block ×3, first 2 shown]
	v_lshlrev_b32_e32 v51, 12, v51
	v_lshlrev_b32_e32 v52, 20, v52
	;; [unrolled: 1-line block ×3, first 2 shown]
	v_and_or_b32 v51, v51, s30, v50
	v_and_b32_e32 v52, 0x100000, v52
	v_and_b32_e32 v49, 0x10000000, v49
	v_or3_b32 v49, v52, v49, v51
	v_lshrrev_b32_e32 v51, 8, v51
	v_and_b32_e32 v50, 31, v50
	v_and_b32_e32 v51, 31, v51
	v_cvt_f16_u16_e32 v50, v50
	v_cvt_f16_u16_e32 v51, v51
	v_mul_u32_u24_sdwa v52, v48, s51 dst_sel:DWORD dst_unused:UNUSED_PAD src0_sel:WORD_0 src1_sel:DWORD
	v_mul_u32_u24_sdwa v48, v48, s51 dst_sel:DWORD dst_unused:UNUSED_PAD src0_sel:WORD_1 src1_sel:DWORD
	v_pack_b32_f16 v50, v50, v51
	v_pk_fma_f16 v93, v50, v52, v48
	v_and_b32_sdwa v50, v49, v210 dst_sel:DWORD dst_unused:UNUSED_PAD src0_sel:WORD_1 src1_sel:DWORD
	v_cvt_f16_u16_sdwa v49, v49 dst_sel:DWORD dst_unused:UNUSED_PAD src0_sel:BYTE_3
	v_cvt_f16_u16_e32 v50, v50
	v_pack_b32_f16 v49, v50, v49
	v_pk_fma_f16 v182, v49, v52, v48
	v_lshl_add_u64 v[48:49], s[40:41], 0, v[170:171]
	v_mad_u64_u32 v[50:51], s[12:13], v174, 24, v[48:49]
	v_lshl_add_u64 v[52:53], v[50:51], 0, v[106:107]
	v_mad_u64_u32 v[48:49], s[12:13], v172, 24, v[48:49]
	v_lshl_add_u64 v[54:55], v[48:49], 0, v[108:109]
	global_load_dword v52, v[52:53], off offset:8
	s_nop 0
	global_load_dword v53, v[54:55], off offset:8
	s_nop 0
	global_load_dwordx2 v[48:49], v[48:49], off
	s_nop 0
	global_load_dwordx2 v[50:51], v[50:51], off
	v_pk_fma_f16 v46, v93, v34, v46
	v_pk_fma_f16 v42, v93, v38, v42
	;; [unrolled: 1-line block ×4, first 2 shown]
	v_mul_u32_u24_sdwa v34, v35, s51 dst_sel:DWORD dst_unused:UNUSED_PAD src0_sel:WORD_0 src1_sel:DWORD
	v_mul_u32_u24_sdwa v38, v39, s51 dst_sel:DWORD dst_unused:UNUSED_PAD src0_sel:WORD_0 src1_sel:DWORD
	ds_write_b128 v195, v[44:47]
	ds_write_b128 v195, v[40:43] offset:16
	v_mul_u32_u24_sdwa v35, v35, s51 dst_sel:DWORD dst_unused:UNUSED_PAD src0_sel:WORD_1 src1_sel:DWORD
	v_mul_u32_u24_sdwa v39, v39, s51 dst_sel:DWORD dst_unused:UNUSED_PAD src0_sel:WORD_1 src1_sel:DWORD
	s_waitcnt vmcnt(7)
	v_ashrrev_i32_e32 v54, v205, v183
	v_and_b32_e32 v54, 0xf0f0f0f, v54
	s_add_u32 s40, s40, s23
	s_waitcnt vmcnt(4)
	v_lshrrev_b32_e32 v55, v204, v37
	v_lshlrev_b32_e32 v55, 4, v55
	v_and_or_b32 v54, v55, 16, v54
	v_lshrrev_b32_e32 v55, v206, v37
	v_lshrrev_b32_e32 v93, v207, v37
	;; [unrolled: 1-line block ×3, first 2 shown]
	v_lshlrev_b32_e32 v55, 12, v55
	v_lshlrev_b32_e32 v93, 20, v93
	;; [unrolled: 1-line block ×3, first 2 shown]
	v_and_or_b32 v55, v55, s30, v54
	v_and_b32_e32 v93, 0x100000, v93
	v_and_b32_e32 v37, 0x10000000, v37
	v_or3_b32 v37, v93, v37, v55
	v_lshrrev_b32_e32 v55, 8, v55
	v_and_b32_e32 v54, 31, v54
	v_and_b32_e32 v55, 31, v55
	v_cvt_f16_u16_e32 v54, v54
	v_cvt_f16_u16_e32 v55, v55
	v_pack_b32_f16 v54, v54, v55
	v_and_b32_sdwa v55, v37, v210 dst_sel:DWORD dst_unused:UNUSED_PAD src0_sel:WORD_1 src1_sel:DWORD
	v_cvt_f16_u16_sdwa v37, v37 dst_sel:DWORD dst_unused:UNUSED_PAD src0_sel:BYTE_3
	v_cvt_f16_u16_e32 v55, v55
	v_mul_u32_u24_sdwa v93, v36, s51 dst_sel:DWORD dst_unused:UNUSED_PAD src0_sel:WORD_0 src1_sel:DWORD
	v_mul_u32_u24_sdwa v36, v36, s51 dst_sel:DWORD dst_unused:UNUSED_PAD src0_sel:WORD_1 src1_sel:DWORD
	v_pack_b32_f16 v37, v55, v37
	v_pk_fma_f16 v54, v54, v93, v36
	v_pk_fma_f16 v36, v37, v93, v36
	v_lshrrev_b32_e32 v37, v204, v33
	v_pk_fma_f16 v45, v36, v34, v45
	v_pk_fma_f16 v41, v36, v38, v41
	v_ashrrev_i32_e32 v36, v205, v184
	v_and_b32_e32 v36, 0xf0f0f0f, v36
	v_lshlrev_b32_e32 v37, 4, v37
	v_pk_fma_f16 v44, v54, v34, v44
	v_pk_fma_f16 v40, v54, v38, v40
	v_and_or_b32 v36, v37, 16, v36
	v_lshrrev_b32_e32 v37, v206, v33
	v_lshrrev_b32_e32 v54, v207, v33
	;; [unrolled: 1-line block ×3, first 2 shown]
	v_lshlrev_b32_e32 v37, 12, v37
	v_lshlrev_b32_e32 v54, 20, v54
	;; [unrolled: 1-line block ×3, first 2 shown]
	v_and_or_b32 v37, v37, s30, v36
	v_and_b32_e32 v54, 0x100000, v54
	v_and_b32_e32 v33, 0x10000000, v33
	v_or3_b32 v33, v54, v33, v37
	v_lshrrev_b32_e32 v37, 8, v37
	v_and_b32_e32 v36, 31, v36
	v_and_b32_e32 v37, 31, v37
	v_cvt_f16_u16_e32 v36, v36
	v_cvt_f16_u16_e32 v37, v37
	v_pack_b32_f16 v36, v36, v37
	v_and_b32_sdwa v37, v33, v210 dst_sel:DWORD dst_unused:UNUSED_PAD src0_sel:WORD_1 src1_sel:DWORD
	v_cvt_f16_u16_sdwa v33, v33 dst_sel:DWORD dst_unused:UNUSED_PAD src0_sel:BYTE_3
	v_cvt_f16_u16_e32 v37, v37
	v_mul_u32_u24_sdwa v54, v32, s51 dst_sel:DWORD dst_unused:UNUSED_PAD src0_sel:WORD_0 src1_sel:DWORD
	v_mul_u32_u24_sdwa v32, v32, s51 dst_sel:DWORD dst_unused:UNUSED_PAD src0_sel:WORD_1 src1_sel:DWORD
	v_pack_b32_f16 v33, v37, v33
	v_pk_fma_f16 v36, v36, v54, v32
	v_pk_fma_f16 v32, v33, v54, v32
	;; [unrolled: 1-line block ×5, first 2 shown]
	s_waitcnt vmcnt(3)
	v_ashrrev_i32_e32 v32, v205, v52
	v_and_b32_e32 v32, 0xf0f0f0f, v32
	v_pk_fma_f16 v42, v36, v38, v42
	s_waitcnt vmcnt(0)
	v_lshrrev_b32_e32 v33, v204, v51
	v_lshlrev_b32_e32 v33, 4, v33
	v_and_or_b32 v32, v33, 16, v32
	v_lshrrev_b32_e32 v33, v206, v51
	v_lshrrev_b32_e32 v34, v207, v51
	;; [unrolled: 1-line block ×3, first 2 shown]
	v_lshlrev_b32_e32 v33, 12, v33
	v_lshlrev_b32_e32 v34, 20, v34
	;; [unrolled: 1-line block ×3, first 2 shown]
	v_and_or_b32 v33, v33, s30, v32
	v_and_b32_e32 v34, 0x100000, v34
	v_and_b32_e32 v36, 0x10000000, v36
	v_or3_b32 v34, v34, v36, v33
	v_lshrrev_b32_e32 v33, 8, v33
	v_and_b32_e32 v32, 31, v32
	v_and_b32_e32 v33, 31, v33
	v_cvt_f16_u16_e32 v32, v32
	v_cvt_f16_u16_e32 v33, v33
	v_mul_u32_u24_sdwa v36, v50, s51 dst_sel:DWORD dst_unused:UNUSED_PAD src0_sel:WORD_0 src1_sel:DWORD
	v_mul_u32_u24_sdwa v37, v50, s51 dst_sel:DWORD dst_unused:UNUSED_PAD src0_sel:WORD_1 src1_sel:DWORD
	v_pack_b32_f16 v32, v32, v33
	v_pk_fma_f16 v33, v32, v36, v37
	v_and_b32_sdwa v32, v34, v210 dst_sel:DWORD dst_unused:UNUSED_PAD src0_sel:WORD_1 src1_sel:DWORD
	v_cvt_f16_u16_sdwa v34, v34 dst_sel:DWORD dst_unused:UNUSED_PAD src0_sel:BYTE_3
	v_cvt_f16_u16_e32 v32, v32
	v_pack_b32_f16 v32, v32, v34
	v_pk_fma_f16 v34, v32, v36, v37
	v_pk_fma_f16 v32, v33, v35, v44
	;; [unrolled: 1-line block ×5, first 2 shown]
	v_ashrrev_i32_e32 v34, v205, v53
	v_lshrrev_b32_e32 v38, v204, v49
	v_and_b32_e32 v34, 0xf0f0f0f, v34
	v_lshlrev_b32_e32 v38, 4, v38
	ds_write_b128 v195, v[40:43] offset:16
	v_and_or_b32 v34, v38, 16, v34
	v_lshrrev_b32_e32 v38, v206, v49
	v_lshrrev_b32_e32 v40, v207, v49
	;; [unrolled: 1-line block ×3, first 2 shown]
	v_lshlrev_b32_e32 v38, 12, v38
	v_lshlrev_b32_e32 v40, 20, v40
	;; [unrolled: 1-line block ×3, first 2 shown]
	v_and_or_b32 v38, v38, s30, v34
	v_and_b32_e32 v40, 0x100000, v40
	v_and_b32_e32 v41, 0x10000000, v41
	v_or3_b32 v40, v40, v41, v38
	v_lshrrev_b32_e32 v38, 8, v38
	v_and_b32_e32 v34, 31, v34
	v_and_b32_e32 v38, 31, v38
	v_cvt_f16_u16_e32 v34, v34
	v_cvt_f16_u16_e32 v38, v38
	ds_write_b128 v195, v[44:47]
	v_mul_u32_u24_sdwa v41, v48, s51 dst_sel:DWORD dst_unused:UNUSED_PAD src0_sel:WORD_0 src1_sel:DWORD
	v_mul_u32_u24_sdwa v44, v48, s51 dst_sel:DWORD dst_unused:UNUSED_PAD src0_sel:WORD_1 src1_sel:DWORD
	v_pack_b32_f16 v34, v34, v38
	v_pk_fma_f16 v38, v34, v41, v44
	v_and_b32_sdwa v34, v40, v210 dst_sel:DWORD dst_unused:UNUSED_PAD src0_sel:WORD_1 src1_sel:DWORD
	v_cvt_f16_u16_sdwa v40, v40 dst_sel:DWORD dst_unused:UNUSED_PAD src0_sel:BYTE_3
	v_cvt_f16_u16_e32 v34, v34
	s_addc_u32 s41, s41, 0
	s_lshl_b64 s[12:13], s[38:39], 1
	v_pack_b32_f16 v34, v34, v40
	s_add_u32 s28, s28, s12
	v_pk_fma_f16 v40, v34, v41, v44
	s_addc_u32 s29, s29, s13
	v_pk_fma_f16 v34, v38, v35, v46
	v_pk_fma_f16 v38, v38, v39, v42
	;; [unrolled: 1-line block ×4, first 2 shown]
	s_cmp_ge_i32 s22, s37
	ds_write_b128 v195, v[32:35]
	ds_write_b128 v195, v[36:39] offset:16
	s_cbranch_scc1 .LBB28_40
; %bb.38:                               ;   in Loop: Header=BB28_21 Depth=1
	v_mov_b32_e32 v37, v180
	v_mov_b32_e32 v36, v181
	s_branch .LBB28_21
.LBB28_39:
	v_mov_b32_e32 v180, 0xfeffffff
	v_mov_b32_e32 v56, 0
	;; [unrolled: 1-line block ×4, first 2 shown]
.LBB28_40:
	s_cmp_eq_u64 s[20:21], 0
	s_cselect_b64 s[6:7], -1, 0
	s_cmp_lg_u32 s5, 0
	s_cselect_b64 s[8:9], -1, 0
	s_or_b64 s[6:7], s[8:9], s[6:7]
	s_nor_b64 s[0:1], s[6:7], s[0:1]
	s_and_saveexec_b64 s[8:9], s[0:1]
	s_cbranch_execz .LBB28_42
; %bb.41:
	s_ashr_i32 s37, s36, 31
	s_lshl_b64 s[0:1], s[36:37], 2
	s_add_u32 s0, s20, s0
	s_addc_u32 s1, s21, s1
	s_load_dword s4, s[0:1], 0x0
	v_cmp_eq_u32_e32 vcc, 1, v175
	s_mov_b32 s10, 0x3fb8aa3b
	v_cmp_eq_u32_e64 s[0:1], 0, v175
	v_cndmask_b32_e32 v0, v180, v181, vcc
	v_max_f32_e32 v1, v0, v0
	s_waitcnt lgkmcnt(0)
	v_max_f32_e64 v2, s4, s4
	v_max_f32_e32 v1, v2, v1
	v_sub_f32_e32 v0, v0, v1
	v_mul_f32_e32 v2, 0x3fb8aa3b, v0
	v_fma_f32 v3, v0, s10, -v2
	v_rndne_f32_e32 v5, v2
	v_fmac_f32_e32 v3, 0x32a5705f, v0
	v_sub_f32_e32 v2, v2, v5
	v_add_f32_e32 v2, v2, v3
	v_exp_f32_e32 v2, v2
	v_cvt_i32_f32_e32 v3, v5
	v_cndmask_b32_e32 v181, v181, v1, vcc
	v_cndmask_b32_e64 v180, v180, v1, s[0:1]
	v_sub_f32_e32 v1, s4, v1
	v_ldexp_f32 v2, v2, v3
	v_mul_f32_e32 v3, 0x3fb8aa3b, v1
	v_fma_f32 v6, v1, s10, -v3
	v_rndne_f32_e32 v7, v3
	v_fmac_f32_e32 v6, 0x32a5705f, v1
	v_sub_f32_e32 v3, v3, v7
	v_add_f32_e32 v3, v3, v6
	v_exp_f32_e32 v3, v3
	v_cvt_i32_f32_e32 v6, v7
	s_mov_b32 s11, 0xc2ce8ed0
	v_cmp_ngt_f32_e64 s[6:7], s11, v0
	s_mov_b32 s12, 0x42b17218
	v_mov_b32_e32 v7, 0x7f800000
	v_cndmask_b32_e64 v2, 0, v2, s[6:7]
	v_cmp_nlt_f32_e64 s[6:7], s12, v0
	v_ldexp_f32 v0, v3, v6
	v_lshl_add_u32 v4, v175, 4, v195
	v_cndmask_b32_e64 v8, v7, v2, s[6:7]
	v_cmp_ngt_f32_e64 s[6:7], s11, v1
	v_cndmask_b32_e32 v5, v56, v57, vcc
	s_nop 0
	v_cndmask_b32_e64 v0, 0, v0, s[6:7]
	v_cmp_nlt_f32_e64 s[6:7], s12, v1
	s_nop 1
	v_cndmask_b32_e64 v0, v7, v0, s[6:7]
	v_cmp_eq_u32_e64 s[6:7], 0, v173
	v_cvt_f16_f32_e32 v7, v8
	s_nop 0
	v_cndmask_b32_e64 v6, 0, v0, s[6:7]
	ds_read_b128 v[0:3], v4
	v_fmac_f32_e32 v6, v5, v8
	v_mul_u32_u24_e32 v5, 0x10001, v7
	v_cndmask_b32_e32 v57, v57, v6, vcc
	v_cndmask_b32_e64 v56, v56, v6, s[0:1]
	s_waitcnt lgkmcnt(0)
	v_pk_mul_f16 v0, v0, v5
	v_pk_mul_f16 v1, v1, v5
	;; [unrolled: 1-line block ×4, first 2 shown]
	ds_write_b128 v4, v[0:3]
.LBB28_42:
	s_or_b64 exec, exec, s[8:9]
	v_cmp_eq_u32_e32 vcc, 0, v175
	v_add_u32_e32 v2, 0x900, v192
	v_add_u32_e32 v8, 0x800, v192
	s_and_saveexec_b64 s[0:1], vcc
	s_cbranch_execz .LBB28_44
; %bb.43:
	v_mov_b32_e32 v0, 0xfeffffff
	v_mov_b32_e32 v1, 0
	ds_write2_b32 v8, v0, v0 offset1:32
	ds_write2_b32 v2, v1, v1 offset1:32
.LBB28_44:
	s_or_b64 exec, exec, s[0:1]
	v_cmp_eq_u32_e64 s[0:1], 0, v173
	s_waitcnt lgkmcnt(0)
	s_barrier
	s_and_saveexec_b64 s[6:7], s[0:1]
; %bb.45:
	v_lshlrev_b32_e32 v0, 2, v175
	v_add_u32_e32 v0, 0x800, v0
	ds_write2_b32 v0, v180, v181 offset1:32
; %bb.46:
	s_or_b64 exec, exec, s[6:7]
	s_cmp_lt_i32 s33, s34
	s_waitcnt lgkmcnt(0)
	s_barrier
	s_cbranch_scc1 .LBB28_48
; %bb.47:
	s_load_dword s8, s[2:3], 0xd4
	s_mul_i32 s4, s48, s34
	s_cbranch_execz .LBB28_49
	s_branch .LBB28_56
.LBB28_48:
                                        ; implicit-def: $sgpr8
	s_mul_i32 s4, s48, s34
.LBB28_49:
	v_mbcnt_hi_u32_b32 v0, -1, v196
	v_and_b32_e32 v1, 0x60, v0
	ds_read_b32 v5, v8
	v_add_u32_e32 v1, 32, v1
	v_xor_b32_e32 v3, 16, v0
	v_cmp_lt_i32_e32 vcc, v3, v1
	v_xor_b32_e32 v4, 8, v0
	s_mov_b32 s6, 0x3fb8aa3b
	v_cndmask_b32_e32 v3, v0, v3, vcc
	v_lshlrev_b32_e32 v3, 2, v3
	s_waitcnt lgkmcnt(0)
	ds_bpermute_b32 v6, v3, v5
	v_cmp_lt_i32_e32 vcc, v4, v1
	v_max_f32_e32 v5, v5, v5
	ds_read_b128 v[12:15], v195
	v_cndmask_b32_e32 v4, v0, v4, vcc
	s_waitcnt lgkmcnt(1)
	v_max_f32_e32 v6, v6, v6
	v_lshlrev_b32_e32 v4, 2, v4
	v_max_f32_e32 v5, v5, v6
	ds_bpermute_b32 v7, v4, v5
	v_xor_b32_e32 v6, 4, v0
	v_cmp_lt_i32_e32 vcc, v6, v1
	s_load_dword s8, s[2:3], 0xd4
	s_waitcnt lgkmcnt(0)
	v_max_f32_e32 v7, v7, v7
	v_cndmask_b32_e32 v6, v0, v6, vcc
	v_lshlrev_b32_e32 v6, 2, v6
	v_max_f32_e32 v7, v5, v7
	ds_bpermute_b32 v9, v6, v7
	v_xor_b32_e32 v5, 2, v0
	v_cmp_lt_i32_e32 vcc, v5, v1
	s_waitcnt lgkmcnt(0)
	v_max_f32_e32 v9, v9, v9
	v_cndmask_b32_e32 v5, v0, v5, vcc
	v_lshlrev_b32_e32 v5, 2, v5
	v_max_f32_e32 v9, v7, v9
	ds_bpermute_b32 v10, v5, v9
	v_xor_b32_e32 v7, 1, v0
	v_cmp_lt_i32_e32 vcc, v7, v1
	s_nop 1
	v_cndmask_b32_e32 v0, v0, v7, vcc
	v_lshlrev_b32_e32 v7, 2, v0
	s_waitcnt lgkmcnt(0)
	v_max_f32_e32 v0, v10, v10
	v_max_f32_e32 v0, v9, v0
	ds_bpermute_b32 v1, v7, v0
	s_waitcnt lgkmcnt(0)
	v_max_f32_e32 v1, v1, v1
	v_max_f32_e32 v0, v0, v1
	v_sub_f32_e32 v1, v180, v0
	v_mul_f32_e32 v9, 0x3fb8aa3b, v1
	v_fma_f32 v10, v1, s6, -v9
	v_rndne_f32_e32 v11, v9
	v_fmamk_f32 v10, v1, 0x32a5705f, v10
	v_sub_f32_e32 v9, v9, v11
	v_add_f32_e32 v9, v9, v10
	v_exp_f32_e32 v9, v9
	v_cvt_i32_f32_e32 v10, v11
	s_mov_b32 s6, 0xc2ce8ed0
	v_cmp_ngt_f32_e32 vcc, s6, v1
	s_mov_b32 s6, 0x42b17218
	v_ldexp_f32 v9, v9, v10
	v_cndmask_b32_e32 v9, 0, v9, vcc
	v_mov_b32_e32 v10, 0x7f800000
	v_cmp_nlt_f32_e32 vcc, s6, v1
	s_nop 1
	v_cndmask_b32_e32 v1, v10, v9, vcc
	v_mul_f32_e32 v9, v56, v1
	ds_bpermute_b32 v10, v3, v9
	v_mov_b32_e32 v9, 0x900
	v_lshl_add_u32 v9, v175, 2, v9
	s_waitcnt lgkmcnt(0)
	v_fmac_f32_e32 v10, v56, v1
	ds_bpermute_b32 v11, v4, v10
	v_cvt_f16_f32_e32 v1, v1
	s_waitcnt lgkmcnt(0)
	v_add_f32_e32 v11, v10, v11
	ds_bpermute_b32 v16, v6, v11
	v_mul_u32_u24_e32 v17, 0x10001, v1
	v_lshlrev_b32_e32 v10, 3, v173
	v_add_u32_e32 v10, v190, v10
	v_pk_mul_f16 v12, v12, v17
	s_waitcnt lgkmcnt(0)
	v_add_f32_e32 v11, v11, v16
	ds_bpermute_b32 v16, v5, v11
	v_pk_mul_f16 v13, v13, v17
	v_pk_mul_f16 v14, v14, v17
	v_pk_mul_f16 v15, v15, v17
	ds_write_b128 v195, v[12:15]
	ds_write2_b64 v10, v[12:13], v[14:15] offset1:32
	s_waitcnt lgkmcnt(2)
	v_add_f32_e32 v1, v11, v16
	ds_bpermute_b32 v11, v7, v1
	s_and_saveexec_b64 s[2:3], s[0:1]
	s_cbranch_execz .LBB28_51
; %bb.50:
	s_waitcnt lgkmcnt(0)
	v_add_f32_e32 v1, v1, v11
	ds_write_b32 v9, v1
.LBB28_51:
	s_or_b64 exec, exec, s[2:3]
	s_waitcnt lgkmcnt(0)
	s_barrier
	ds_read_b32 v1, v2
	ds_read_u16 v11, v193
	ds_read_u16 v13, v193 offset:1280
	ds_read_u16 v14, v193 offset:768
	;; [unrolled: 1-line block ×3, first 2 shown]
	s_waitcnt lgkmcnt(4)
	ds_bpermute_b32 v12, v3, v1
	ds_read_u16 v17, v193 offset:512
	ds_read_u16 v18, v193 offset:1024
	;; [unrolled: 1-line block ×3, first 2 shown]
	s_waitcnt lgkmcnt(7)
	v_cvt_f32_f16_e32 v11, v11
	s_cmp_eq_u32 s8, 1
	s_waitcnt lgkmcnt(2)
	v_cvt_f32_f16_e32 v17, v17
	v_add_f32_e32 v1, v1, v12
	ds_bpermute_b32 v12, v4, v1
	s_waitcnt lgkmcnt(2)
	v_cvt_f32_f16_e32 v18, v18
	s_waitcnt lgkmcnt(1)
	v_cvt_f32_f16_e32 v19, v19
	v_add_f32_e32 v11, 0, v11
	v_add_f32_e32 v11, v11, v17
	s_waitcnt lgkmcnt(0)
	v_add_f32_e32 v12, v1, v12
	ds_bpermute_b32 v16, v6, v12
	v_add_f32_e32 v11, v11, v18
	v_add_f32_e32 v11, v11, v19
	ds_read_u16 v17, v193 offset:1792
	v_cvt_f32_f16_e32 v15, v15
	s_waitcnt lgkmcnt(1)
	v_add_f32_e32 v12, v12, v16
	ds_bpermute_b32 v16, v5, v12
	v_cvt_f32_f16_e32 v14, v14
	v_cvt_f32_f16_e32 v13, v13
	v_add_f32_e32 v15, 0, v15
	v_mov_b32_e32 v1, v181
	s_waitcnt lgkmcnt(0)
	v_add_f32_e32 v12, v12, v16
	ds_bpermute_b32 v16, v7, v12
	v_add_f32_e32 v14, v15, v14
	v_add_f32_e32 v13, v14, v13
	s_waitcnt lgkmcnt(0)
	v_add_f32_e32 v56, v12, v16
	v_div_scale_f32 v12, s[2:3], v56, v56, v11
	v_rcp_f32_e32 v16, v12
	v_div_scale_f32 v18, vcc, v11, v56, v11
	s_cselect_b64 s[2:3], -1, 0
	v_fma_f32 v19, -v12, v16, 1.0
	v_fmac_f32_e32 v16, v19, v16
	v_mul_f32_e32 v19, v18, v16
	v_fma_f32 v20, -v12, v19, v18
	v_fmac_f32_e32 v19, v20, v16
	v_fma_f32 v12, -v12, v19, v18
	v_div_fmas_f32 v12, v12, v16, v19
	v_div_fixup_f32 v16, v12, v56, v11
	s_add_i32 s6, s4, s33
	v_cndmask_b32_e64 v11, v11, v16, s[2:3]
	v_cvt_f32_f16_e32 v16, v17
	s_mul_i32 s9, s6, s35
	s_add_i32 s9, s9, s36
	s_mul_i32 s6, s8, s9
	s_add_i32 s6, s6, s5
	v_add_f32_e32 v14, v13, v16
	v_lshl_or_b32 v12, s6, 8, v191
	v_div_scale_f32 v15, s[6:7], v56, v56, v14
	v_rcp_f32_e32 v16, v15
	v_mov_b32_e32 v13, 0
	v_lshl_add_u64 v[12:13], v[12:13], 2, s[24:25]
	global_store_dword v[12:13], v11, off
	v_fma_f32 v11, -v15, v16, 1.0
	v_fmac_f32_e32 v16, v11, v16
	v_div_scale_f32 v11, vcc, v14, v56, v14
	v_mul_f32_e32 v17, v11, v16
	v_fma_f32 v18, -v15, v17, v11
	v_fmac_f32_e32 v17, v18, v16
	v_fma_f32 v11, -v15, v17, v11
	v_div_fmas_f32 v11, v11, v16, v17
	v_div_fixup_f32 v11, v11, v56, v14
	s_or_b32 s6, s33, 1
	v_cndmask_b32_e64 v11, v14, v11, s[2:3]
	s_cmp_ge_i32 s6, s34
	global_store_dword v[12:13], v11, off offset:512
	s_barrier
	s_cbranch_scc1 .LBB28_55
; %bb.52:
	ds_read_b32 v1, v8 offset:128
	s_mov_b32 s6, 0x3fb8aa3b
	s_mov_b32 s7, 0x42b17218
	s_waitcnt lgkmcnt(0)
	ds_bpermute_b32 v8, v3, v1
	v_max_f32_e32 v1, v1, v1
	s_waitcnt lgkmcnt(0)
	v_max_f32_e32 v8, v8, v8
	v_max_f32_e32 v1, v1, v8
	ds_bpermute_b32 v8, v4, v1
	s_waitcnt lgkmcnt(0)
	v_max_f32_e32 v8, v8, v8
	v_max_f32_e32 v1, v1, v8
	ds_bpermute_b32 v8, v6, v1
	;; [unrolled: 4-line block ×4, first 2 shown]
	s_waitcnt lgkmcnt(0)
	v_max_f32_e32 v8, v8, v8
	v_max_f32_e32 v1, v1, v8
	v_sub_f32_e32 v8, v181, v1
	v_mul_f32_e32 v11, 0x3fb8aa3b, v8
	v_fma_f32 v12, v8, s6, -v11
	v_rndne_f32_e32 v13, v11
	v_fmamk_f32 v12, v8, 0x32a5705f, v12
	v_sub_f32_e32 v11, v11, v13
	v_add_f32_e32 v11, v11, v12
	v_cvt_i32_f32_e32 v13, v13
	v_exp_f32_e32 v11, v11
	s_mov_b32 s6, 0xc2ce8ed0
	v_cmp_ngt_f32_e32 vcc, s6, v8
	v_mov_b32_e32 v12, 0x7f800000
	v_ldexp_f32 v11, v11, v13
	v_cndmask_b32_e32 v11, 0, v11, vcc
	v_cmp_nlt_f32_e32 vcc, s7, v8
	s_nop 1
	v_cndmask_b32_e32 v8, v12, v11, vcc
	v_mul_f32_e32 v11, v57, v8
	ds_bpermute_b32 v11, v3, v11
	s_waitcnt lgkmcnt(0)
	v_fmac_f32_e32 v11, v57, v8
	ds_bpermute_b32 v12, v4, v11
	v_cvt_f16_f32_e32 v8, v8
	s_waitcnt lgkmcnt(0)
	v_add_f32_e32 v11, v11, v12
	ds_bpermute_b32 v16, v6, v11
	ds_read_b128 v[12:15], v195 offset:16
	v_mul_u32_u24_e32 v17, 0x10001, v8
	s_waitcnt lgkmcnt(1)
	v_add_f32_e32 v11, v11, v16
	ds_bpermute_b32 v16, v5, v11
	s_waitcnt lgkmcnt(1)
	v_pk_mul_f16 v12, v12, v17
	v_pk_mul_f16 v13, v13, v17
	;; [unrolled: 1-line block ×4, first 2 shown]
	s_waitcnt lgkmcnt(0)
	v_add_f32_e32 v8, v11, v16
	ds_bpermute_b32 v11, v7, v8
	ds_write_b128 v195, v[12:15] offset:16
	ds_write2_b64 v10, v[12:13], v[14:15] offset1:32
	s_and_saveexec_b64 s[6:7], s[0:1]
	s_cbranch_execz .LBB28_54
; %bb.53:
	s_waitcnt lgkmcnt(2)
	v_add_f32_e32 v8, v8, v11
	ds_write_b32 v9, v8 offset:128
.LBB28_54:
	s_or_b64 exec, exec, s[6:7]
	s_waitcnt lgkmcnt(0)
	s_barrier
	ds_read_b32 v2, v2 offset:128
	ds_read_u16 v8, v193
	ds_read_u16 v9, v193 offset:1280
	ds_read_u16 v10, v193 offset:768
	ds_read_u16 v11, v193 offset:256
	s_waitcnt lgkmcnt(4)
	ds_bpermute_b32 v3, v3, v2
	s_add_i32 s9, s9, s35
	s_mul_i32 s0, s8, s9
	s_add_i32 s6, s0, s5
	s_waitcnt lgkmcnt(0)
	v_add_f32_e32 v2, v2, v3
	ds_bpermute_b32 v3, v4, v2
	ds_read_u16 v4, v193 offset:512
	ds_read_u16 v12, v193 offset:1024
	;; [unrolled: 1-line block ×3, first 2 shown]
	s_waitcnt lgkmcnt(2)
	v_cvt_f32_f16_e32 v4, v4
	v_add_f32_e32 v2, v2, v3
	ds_bpermute_b32 v3, v6, v2
	ds_read_u16 v6, v193 offset:1792
	s_waitcnt lgkmcnt(1)
	v_add_f32_e32 v2, v2, v3
	ds_bpermute_b32 v3, v5, v2
	v_cvt_f32_f16_e32 v5, v8
	v_cvt_f32_f16_e32 v8, v12
	;; [unrolled: 1-line block ×3, first 2 shown]
	s_waitcnt lgkmcnt(1)
	v_cvt_f32_f16_e32 v6, v6
	s_waitcnt lgkmcnt(0)
	v_add_f32_e32 v2, v2, v3
	ds_bpermute_b32 v3, v7, v2
	v_add_f32_e32 v5, 0, v5
	v_add_f32_e32 v4, v5, v4
	;; [unrolled: 1-line block ×4, first 2 shown]
	s_waitcnt lgkmcnt(0)
	v_add_f32_e32 v57, v2, v3
	v_div_scale_f32 v3, s[0:1], v57, v57, v4
	v_rcp_f32_e32 v5, v3
	v_div_scale_f32 v7, vcc, v4, v57, v4
	v_lshl_or_b32 v2, s6, 8, v191
	v_fma_f32 v8, -v3, v5, 1.0
	v_fmac_f32_e32 v5, v8, v5
	v_mul_f32_e32 v8, v7, v5
	v_fma_f32 v12, -v3, v8, v7
	v_fmac_f32_e32 v8, v12, v5
	v_fma_f32 v3, -v3, v8, v7
	v_div_fmas_f32 v3, v3, v5, v8
	v_div_fixup_f32 v3, v3, v57, v4
	v_cndmask_b32_e64 v4, v4, v3, s[2:3]
	v_cvt_f32_f16_e32 v3, v11
	v_cvt_f32_f16_e32 v5, v10
	;; [unrolled: 1-line block ×3, first 2 shown]
	v_add_f32_e32 v3, 0, v3
	v_add_f32_e32 v3, v3, v5
	;; [unrolled: 1-line block ×4, first 2 shown]
	v_div_scale_f32 v6, s[0:1], v57, v57, v5
	v_rcp_f32_e32 v7, v6
	v_mov_b32_e32 v3, 0
	v_lshl_add_u64 v[2:3], v[2:3], 2, s[24:25]
	global_store_dword v[2:3], v4, off
	v_fma_f32 v4, -v6, v7, 1.0
	v_fmac_f32_e32 v7, v4, v7
	v_div_scale_f32 v4, vcc, v5, v57, v5
	v_mul_f32_e32 v8, v4, v7
	v_fma_f32 v9, -v6, v8, v4
	v_fmac_f32_e32 v8, v9, v7
	v_fma_f32 v4, -v6, v8, v4
	v_div_fmas_f32 v4, v4, v7, v8
	v_div_fixup_f32 v4, v4, v57, v5
	v_cndmask_b32_e64 v4, v5, v4, s[2:3]
	global_store_dword v[2:3], v4, off offset:512
.LBB28_55:
	v_mov_b64_e32 v[180:181], v[0:1]
.LBB28_56:
	s_waitcnt lgkmcnt(0)
	s_cmp_lg_u32 s8, 1
	s_cselect_b64 s[0:1], -1, 0
	v_cmp_gt_u32_e32 vcc, 2, v191
	v_or_b32_e32 v0, s33, v173
	s_and_b64 s[0:1], s[0:1], vcc
	v_cmp_gt_i32_e32 vcc, s34, v0
	s_and_b64 s[0:1], s[0:1], vcc
	s_and_saveexec_b64 s[2:3], s[0:1]
	s_cbranch_execz .LBB28_58
; %bb.57:
	v_add_u32_e32 v0, s4, v0
	v_mul_lo_u32 v0, v0, s35
	v_add_u32_e32 v0, s36, v0
	v_mul_lo_u32 v0, s8, v0
	v_mov_b32_e32 v2, s26
	v_mov_b32_e32 v3, s27
	v_cmp_eq_u32_e32 vcc, 1, v191
	v_add_u32_e32 v0, s5, v0
	v_mov_b32_e32 v1, 0
	v_cndmask_b32_e32 v4, v180, v181, vcc
	v_cndmask_b32_e32 v5, v56, v57, vcc
	v_lshl_add_u64 v[0:1], v[0:1], 3, v[2:3]
	global_store_dwordx2 v[0:1], v[4:5], off
.LBB28_58:
	s_endpgm
	.section	.rodata,"a",@progbits
	.p2align	6, 0x0
	.amdhsa_kernel _ZL18flash_attn_ext_vecILi256ELi2EL9ggml_type7ELS0_7ELb0EEvPKcS2_S2_S2_S2_PKiPfP15HIP_vector_typeIfLj2EEffffjfiS6_IjLj3EEiiiiiiiiiiiliiliiiiil
		.amdhsa_group_segment_fixed_size 6656
		.amdhsa_private_segment_fixed_size 0
		.amdhsa_kernarg_size 464
		.amdhsa_user_sgpr_count 4
		.amdhsa_user_sgpr_dispatch_ptr 1
		.amdhsa_user_sgpr_queue_ptr 0
		.amdhsa_user_sgpr_kernarg_segment_ptr 1
		.amdhsa_user_sgpr_dispatch_id 0
		.amdhsa_user_sgpr_kernarg_preload_length 0
		.amdhsa_user_sgpr_kernarg_preload_offset 0
		.amdhsa_user_sgpr_private_segment_size 0
		.amdhsa_uses_dynamic_stack 0
		.amdhsa_enable_private_segment 0
		.amdhsa_system_sgpr_workgroup_id_x 1
		.amdhsa_system_sgpr_workgroup_id_y 1
		.amdhsa_system_sgpr_workgroup_id_z 1
		.amdhsa_system_sgpr_workgroup_info 0
		.amdhsa_system_vgpr_workitem_id 2
		.amdhsa_next_free_vgpr 234
		.amdhsa_next_free_sgpr 56
		.amdhsa_accum_offset 236
		.amdhsa_reserve_vcc 1
		.amdhsa_float_round_mode_32 0
		.amdhsa_float_round_mode_16_64 0
		.amdhsa_float_denorm_mode_32 3
		.amdhsa_float_denorm_mode_16_64 3
		.amdhsa_dx10_clamp 1
		.amdhsa_ieee_mode 1
		.amdhsa_fp16_overflow 0
		.amdhsa_tg_split 0
		.amdhsa_exception_fp_ieee_invalid_op 0
		.amdhsa_exception_fp_denorm_src 0
		.amdhsa_exception_fp_ieee_div_zero 0
		.amdhsa_exception_fp_ieee_overflow 0
		.amdhsa_exception_fp_ieee_underflow 0
		.amdhsa_exception_fp_ieee_inexact 0
		.amdhsa_exception_int_div_zero 0
	.end_amdhsa_kernel
	.section	.text._ZL18flash_attn_ext_vecILi256ELi2EL9ggml_type7ELS0_7ELb0EEvPKcS2_S2_S2_S2_PKiPfP15HIP_vector_typeIfLj2EEffffjfiS6_IjLj3EEiiiiiiiiiiiliiliiiiil,"axG",@progbits,_ZL18flash_attn_ext_vecILi256ELi2EL9ggml_type7ELS0_7ELb0EEvPKcS2_S2_S2_S2_PKiPfP15HIP_vector_typeIfLj2EEffffjfiS6_IjLj3EEiiiiiiiiiiiliiliiiiil,comdat
.Lfunc_end28:
	.size	_ZL18flash_attn_ext_vecILi256ELi2EL9ggml_type7ELS0_7ELb0EEvPKcS2_S2_S2_S2_PKiPfP15HIP_vector_typeIfLj2EEffffjfiS6_IjLj3EEiiiiiiiiiiiliiliiiiil, .Lfunc_end28-_ZL18flash_attn_ext_vecILi256ELi2EL9ggml_type7ELS0_7ELb0EEvPKcS2_S2_S2_S2_PKiPfP15HIP_vector_typeIfLj2EEffffjfiS6_IjLj3EEiiiiiiiiiiiliiliiiiil
                                        ; -- End function
	.set _ZL18flash_attn_ext_vecILi256ELi2EL9ggml_type7ELS0_7ELb0EEvPKcS2_S2_S2_S2_PKiPfP15HIP_vector_typeIfLj2EEffffjfiS6_IjLj3EEiiiiiiiiiiiliiliiiiil.num_vgpr, 234
	.set _ZL18flash_attn_ext_vecILi256ELi2EL9ggml_type7ELS0_7ELb0EEvPKcS2_S2_S2_S2_PKiPfP15HIP_vector_typeIfLj2EEffffjfiS6_IjLj3EEiiiiiiiiiiiliiliiiiil.num_agpr, 0
	.set _ZL18flash_attn_ext_vecILi256ELi2EL9ggml_type7ELS0_7ELb0EEvPKcS2_S2_S2_S2_PKiPfP15HIP_vector_typeIfLj2EEffffjfiS6_IjLj3EEiiiiiiiiiiiliiliiiiil.numbered_sgpr, 56
	.set _ZL18flash_attn_ext_vecILi256ELi2EL9ggml_type7ELS0_7ELb0EEvPKcS2_S2_S2_S2_PKiPfP15HIP_vector_typeIfLj2EEffffjfiS6_IjLj3EEiiiiiiiiiiiliiliiiiil.num_named_barrier, 0
	.set _ZL18flash_attn_ext_vecILi256ELi2EL9ggml_type7ELS0_7ELb0EEvPKcS2_S2_S2_S2_PKiPfP15HIP_vector_typeIfLj2EEffffjfiS6_IjLj3EEiiiiiiiiiiiliiliiiiil.private_seg_size, 0
	.set _ZL18flash_attn_ext_vecILi256ELi2EL9ggml_type7ELS0_7ELb0EEvPKcS2_S2_S2_S2_PKiPfP15HIP_vector_typeIfLj2EEffffjfiS6_IjLj3EEiiiiiiiiiiiliiliiiiil.uses_vcc, 1
	.set _ZL18flash_attn_ext_vecILi256ELi2EL9ggml_type7ELS0_7ELb0EEvPKcS2_S2_S2_S2_PKiPfP15HIP_vector_typeIfLj2EEffffjfiS6_IjLj3EEiiiiiiiiiiiliiliiiiil.uses_flat_scratch, 0
	.set _ZL18flash_attn_ext_vecILi256ELi2EL9ggml_type7ELS0_7ELb0EEvPKcS2_S2_S2_S2_PKiPfP15HIP_vector_typeIfLj2EEffffjfiS6_IjLj3EEiiiiiiiiiiiliiliiiiil.has_dyn_sized_stack, 0
	.set _ZL18flash_attn_ext_vecILi256ELi2EL9ggml_type7ELS0_7ELb0EEvPKcS2_S2_S2_S2_PKiPfP15HIP_vector_typeIfLj2EEffffjfiS6_IjLj3EEiiiiiiiiiiiliiliiiiil.has_recursion, 0
	.set _ZL18flash_attn_ext_vecILi256ELi2EL9ggml_type7ELS0_7ELb0EEvPKcS2_S2_S2_S2_PKiPfP15HIP_vector_typeIfLj2EEffffjfiS6_IjLj3EEiiiiiiiiiiiliiliiiiil.has_indirect_call, 0
	.section	.AMDGPU.csdata,"",@progbits
; Kernel info:
; codeLenInByte = 35240
; TotalNumSgprs: 62
; NumVgprs: 234
; NumAgprs: 0
; TotalNumVgprs: 234
; ScratchSize: 0
; MemoryBound: 0
; FloatMode: 240
; IeeeMode: 1
; LDSByteSize: 6656 bytes/workgroup (compile time only)
; SGPRBlocks: 7
; VGPRBlocks: 29
; NumSGPRsForWavesPerEU: 62
; NumVGPRsForWavesPerEU: 234
; AccumOffset: 236
; Occupancy: 2
; WaveLimiterHint : 0
; COMPUTE_PGM_RSRC2:SCRATCH_EN: 0
; COMPUTE_PGM_RSRC2:USER_SGPR: 4
; COMPUTE_PGM_RSRC2:TRAP_HANDLER: 0
; COMPUTE_PGM_RSRC2:TGID_X_EN: 1
; COMPUTE_PGM_RSRC2:TGID_Y_EN: 1
; COMPUTE_PGM_RSRC2:TGID_Z_EN: 1
; COMPUTE_PGM_RSRC2:TIDIG_COMP_CNT: 2
; COMPUTE_PGM_RSRC3_GFX90A:ACCUM_OFFSET: 58
; COMPUTE_PGM_RSRC3_GFX90A:TG_SPLIT: 0
	.section	.text._ZL33flash_attn_stream_k_fixup_uniformILi256ELi2ELi1EEvPfPK15HIP_vector_typeIfLj2EEiiiiiiS1_IjLj3EES5_S5_,"axG",@progbits,_ZL33flash_attn_stream_k_fixup_uniformILi256ELi2ELi1EEvPfPK15HIP_vector_typeIfLj2EEiiiiiiS1_IjLj3EES5_S5_,comdat
	.globl	_ZL33flash_attn_stream_k_fixup_uniformILi256ELi2ELi1EEvPfPK15HIP_vector_typeIfLj2EEiiiiiiS1_IjLj3EES5_S5_ ; -- Begin function _ZL33flash_attn_stream_k_fixup_uniformILi256ELi2ELi1EEvPfPK15HIP_vector_typeIfLj2EEiiiiiiS1_IjLj3EES5_S5_
	.p2align	8
	.type	_ZL33flash_attn_stream_k_fixup_uniformILi256ELi2ELi1EEvPfPK15HIP_vector_typeIfLj2EEiiiiiiS1_IjLj3EES5_S5_,@function
_ZL33flash_attn_stream_k_fixup_uniformILi256ELi2ELi1EEvPfPK15HIP_vector_typeIfLj2EEiiiiiiS1_IjLj3EES5_S5_: ; @_ZL33flash_attn_stream_k_fixup_uniformILi256ELi2ELi1EEvPfPK15HIP_vector_typeIfLj2EEiiiiiiS1_IjLj3EES5_S5_
; %bb.0:
	s_load_dwordx8 s[8:15], s[0:1], 0x1c
	s_load_dwordx2 s[6:7], s[0:1], 0x10
	s_load_dwordx4 s[20:23], s[0:1], 0x3c
	s_waitcnt lgkmcnt(0)
	s_mul_hi_u32 s5, s11, s2
	s_add_i32 s5, s2, s5
	s_lshr_b32 s5, s5, s12
	s_mul_i32 s11, s5, s13
	s_sub_i32 s11, s2, s11
	s_mul_hi_u32 s12, s11, s14
	s_add_i32 s12, s11, s12
	s_lshr_b32 s16, s12, s15
	s_mul_i32 s12, s16, s20
	s_sub_i32 s12, s11, s12
	s_mul_hi_u32 s11, s12, s21
	s_add_i32 s11, s12, s11
	s_lshr_b32 s11, s11, s22
	s_mul_i32 s13, s11, s23
	s_sub_i32 s17, s12, s13
	s_lshl_b32 s12, s17, 1
	s_add_i32 s12, s12, s3
	s_cmp_lt_i32 s12, s6
	s_cselect_b64 s[12:13], -1, 0
	s_add_i32 s14, s11, s4
	s_cmp_lt_i32 s14, s9
	s_cselect_b64 s[14:15], -1, 0
	s_and_b64 s[12:13], s[12:13], s[14:15]
	s_andn2_b64 vcc, exec, s[12:13]
	s_cbranch_vccnz .LBB29_6
; %bb.1:
	s_load_dwordx4 s[12:15], s[0:1], 0x0
	s_mul_i32 s0, s5, s6
	s_add_i32 s0, s0, s3
	s_mul_i32 s0, s0, s7
	s_mul_i32 s16, s16, s9
	s_add_i32 s0, s0, s4
	s_add_i32 s0, s0, s16
	s_mul_i32 s1, s7, s17
	s_add_i32 s0, s0, s11
	s_lshl_b32 s1, s1, 9
	s_lshl_b32 s0, s0, 8
	s_add_i32 s1, s1, s0
	v_or_b32_e32 v4, s1, v0
	s_waitcnt lgkmcnt(0)
	v_mov_b32_e32 v2, s12
	v_mov_b32_e32 v3, s13
	v_ashrrev_i32_e32 v5, 31, v4
	v_lshl_add_u64 v[2:3], v[4:5], 2, v[2:3]
	global_load_dword v5, v[2:3], off
	s_mul_i32 s6, s10, s2
	s_add_i32 s7, s6, s10
	s_add_i32 s3, s3, s4
	s_lshl_b32 s0, s7, 1
	s_add_i32 s0, s3, s0
	s_add_i32 s0, s0, -2
	s_ashr_i32 s1, s0, 31
	s_lshl_b64 s[0:1], s[0:1], 3
	s_add_u32 s0, s14, s0
	s_addc_u32 s1, s15, s1
	s_load_dword s9, s[0:1], 0x4
	s_add_i32 s4, s7, -2
	s_cmp_lt_i32 s4, s6
	s_cbranch_scc1 .LBB29_4
; %bb.2:
	s_lshl_b32 s4, s8, 3
	s_ashr_i32 s5, s4, 31
	s_lshl_b64 s[4:5], s[4:5], 2
	s_add_u32 s4, s14, s4
	s_addc_u32 s5, s15, s5
	s_add_i32 s2, s2, 1
	s_mul_i32 s2, s10, s2
	s_load_dword s0, s[0:1], 0x0
	s_lshl_b32 s1, s3, 8
	s_lshl_b32 s10, s2, 9
	s_add_i32 s1, s1, s10
	v_or_b32_e32 v0, s1, v0
	s_lshl_b32 s1, s2, 1
	s_add_i32 s1, s3, s1
	s_lshl_b32 s2, s8, 1
	s_add_i32 s1, s1, s2
	s_add_i32 s7, s7, -1
	v_add_u32_e32 v0, 0xfffffc00, v0
	s_add_i32 s2, s1, -4
	s_waitcnt lgkmcnt(0)
	v_mov_b32_e32 v7, s0
	v_mov_b32_e32 v4, s9
	s_mov_b32 s8, 0x3fb8aa3b
	s_mov_b32 s9, 0xc2ce8ed0
	s_mov_b32 s10, 0x42b17218
	v_mov_b32_e32 v6, 0x7f800000
	s_mov_b32 s11, 0xc1a00000
.LBB29_3:                               ; =>This Inner Loop Header: Depth=1
	v_ashrrev_i32_e32 v1, 31, v0
	v_lshl_add_u64 v[8:9], v[0:1], 2, s[4:5]
	global_load_dword v9, v[8:9], off
	s_ashr_i32 s3, s2, 31
	s_lshl_b64 s[0:1], s[2:3], 3
	s_add_u32 s0, s14, s0
	s_addc_u32 s1, s15, s1
	s_load_dwordx2 s[0:1], s[0:1], 0x0
	v_max_f32_e32 v1, v7, v7
	s_add_i32 s7, s7, -1
	s_add_i32 s2, s2, -2
	v_add_u32_e32 v0, 0xfffffe00, v0
	s_waitcnt lgkmcnt(0)
	v_max_f32_e64 v10, s0, s0
	v_max_f32_e32 v1, v1, v10
	v_sub_f32_e32 v11, s0, v1
	v_sub_f32_e32 v10, v7, v1
	v_mul_f32_e32 v12, 0x3fb8aa3b, v11
	v_mov_b32_e32 v7, v1
	v_mul_f32_e32 v1, 0x3fb8aa3b, v10
	v_fma_f32 v15, v11, s8, -v12
	v_rndne_f32_e32 v16, v12
	v_fma_f32 v13, v10, s8, -v1
	v_rndne_f32_e32 v14, v1
	v_fmac_f32_e32 v15, 0x32a5705f, v11
	v_sub_f32_e32 v12, v12, v16
	v_fmac_f32_e32 v13, 0x32a5705f, v10
	v_sub_f32_e32 v1, v1, v14
	v_add_f32_e32 v12, v12, v15
	v_cvt_i32_f32_e32 v16, v16
	v_add_f32_e32 v1, v1, v13
	v_exp_f32_e32 v12, v12
	v_cvt_i32_f32_e32 v14, v14
	v_exp_f32_e32 v1, v1
	v_cmp_ngt_f32_e32 vcc, s9, v11
	v_ldexp_f32 v12, v12, v16
	v_mov_b32_e32 v8, s1
	v_ldexp_f32 v1, v1, v14
	v_cmp_ngt_f32_e64 s[0:1], s9, v10
	v_cndmask_b32_e32 v12, 0, v12, vcc
	v_cmp_nlt_f32_e32 vcc, s10, v11
	v_cndmask_b32_e64 v1, 0, v1, s[0:1]
	v_cmp_nlt_f32_e64 s[0:1], s10, v10
	v_cndmask_b32_e32 v12, v6, v12, vcc
	v_cmp_le_f32_e32 vcc, s11, v11
	v_cndmask_b32_e64 v1, v6, v1, s[0:1]
	v_cmp_le_f32_e64 s[0:1], s11, v10
	v_cndmask_b32_e32 v12, 0, v12, vcc
	s_cmp_le_i32 s7, s6
	v_cndmask_b32_e64 v10, 0, v1, s[0:1]
	s_waitcnt vmcnt(0)
	v_pk_mul_f32 v[8:9], v[8:9], v[12:13] op_sel_hi:[1,0]
	s_nop 0
	v_pk_fma_f32 v[4:5], v[4:5], v[10:11], v[8:9] op_sel_hi:[1,0,1]
	s_cbranch_scc0 .LBB29_3
	s_branch .LBB29_5
.LBB29_4:
	s_waitcnt lgkmcnt(0)
	v_mov_b32_e32 v4, s9
.LBB29_5:
	s_waitcnt vmcnt(0)
	v_div_scale_f32 v0, s[0:1], v4, v4, v5
	v_rcp_f32_e32 v1, v0
	v_div_scale_f32 v6, vcc, v5, v4, v5
	v_fma_f32 v7, -v0, v1, 1.0
	v_fmac_f32_e32 v1, v7, v1
	v_mul_f32_e32 v7, v6, v1
	v_fma_f32 v8, -v0, v7, v6
	v_fmac_f32_e32 v7, v8, v1
	v_fma_f32 v0, -v0, v7, v6
	v_div_fmas_f32 v0, v0, v1, v7
	v_div_fixup_f32 v0, v0, v4, v5
	global_store_dword v[2:3], v0, off
.LBB29_6:
	s_endpgm
	.section	.rodata,"a",@progbits
	.p2align	6, 0x0
	.amdhsa_kernel _ZL33flash_attn_stream_k_fixup_uniformILi256ELi2ELi1EEvPfPK15HIP_vector_typeIfLj2EEiiiiiiS1_IjLj3EES5_S5_
		.amdhsa_group_segment_fixed_size 0
		.amdhsa_private_segment_fixed_size 0
		.amdhsa_kernarg_size 76
		.amdhsa_user_sgpr_count 2
		.amdhsa_user_sgpr_dispatch_ptr 0
		.amdhsa_user_sgpr_queue_ptr 0
		.amdhsa_user_sgpr_kernarg_segment_ptr 1
		.amdhsa_user_sgpr_dispatch_id 0
		.amdhsa_user_sgpr_kernarg_preload_length 0
		.amdhsa_user_sgpr_kernarg_preload_offset 0
		.amdhsa_user_sgpr_private_segment_size 0
		.amdhsa_uses_dynamic_stack 0
		.amdhsa_enable_private_segment 0
		.amdhsa_system_sgpr_workgroup_id_x 1
		.amdhsa_system_sgpr_workgroup_id_y 1
		.amdhsa_system_sgpr_workgroup_id_z 1
		.amdhsa_system_sgpr_workgroup_info 0
		.amdhsa_system_vgpr_workitem_id 0
		.amdhsa_next_free_vgpr 17
		.amdhsa_next_free_sgpr 24
		.amdhsa_accum_offset 20
		.amdhsa_reserve_vcc 1
		.amdhsa_float_round_mode_32 0
		.amdhsa_float_round_mode_16_64 0
		.amdhsa_float_denorm_mode_32 3
		.amdhsa_float_denorm_mode_16_64 3
		.amdhsa_dx10_clamp 1
		.amdhsa_ieee_mode 1
		.amdhsa_fp16_overflow 0
		.amdhsa_tg_split 0
		.amdhsa_exception_fp_ieee_invalid_op 0
		.amdhsa_exception_fp_denorm_src 0
		.amdhsa_exception_fp_ieee_div_zero 0
		.amdhsa_exception_fp_ieee_overflow 0
		.amdhsa_exception_fp_ieee_underflow 0
		.amdhsa_exception_fp_ieee_inexact 0
		.amdhsa_exception_int_div_zero 0
	.end_amdhsa_kernel
	.section	.text._ZL33flash_attn_stream_k_fixup_uniformILi256ELi2ELi1EEvPfPK15HIP_vector_typeIfLj2EEiiiiiiS1_IjLj3EES5_S5_,"axG",@progbits,_ZL33flash_attn_stream_k_fixup_uniformILi256ELi2ELi1EEvPfPK15HIP_vector_typeIfLj2EEiiiiiiS1_IjLj3EES5_S5_,comdat
.Lfunc_end29:
	.size	_ZL33flash_attn_stream_k_fixup_uniformILi256ELi2ELi1EEvPfPK15HIP_vector_typeIfLj2EEiiiiiiS1_IjLj3EES5_S5_, .Lfunc_end29-_ZL33flash_attn_stream_k_fixup_uniformILi256ELi2ELi1EEvPfPK15HIP_vector_typeIfLj2EEiiiiiiS1_IjLj3EES5_S5_
                                        ; -- End function
	.set _ZL33flash_attn_stream_k_fixup_uniformILi256ELi2ELi1EEvPfPK15HIP_vector_typeIfLj2EEiiiiiiS1_IjLj3EES5_S5_.num_vgpr, 17
	.set _ZL33flash_attn_stream_k_fixup_uniformILi256ELi2ELi1EEvPfPK15HIP_vector_typeIfLj2EEiiiiiiS1_IjLj3EES5_S5_.num_agpr, 0
	.set _ZL33flash_attn_stream_k_fixup_uniformILi256ELi2ELi1EEvPfPK15HIP_vector_typeIfLj2EEiiiiiiS1_IjLj3EES5_S5_.numbered_sgpr, 24
	.set _ZL33flash_attn_stream_k_fixup_uniformILi256ELi2ELi1EEvPfPK15HIP_vector_typeIfLj2EEiiiiiiS1_IjLj3EES5_S5_.num_named_barrier, 0
	.set _ZL33flash_attn_stream_k_fixup_uniformILi256ELi2ELi1EEvPfPK15HIP_vector_typeIfLj2EEiiiiiiS1_IjLj3EES5_S5_.private_seg_size, 0
	.set _ZL33flash_attn_stream_k_fixup_uniformILi256ELi2ELi1EEvPfPK15HIP_vector_typeIfLj2EEiiiiiiS1_IjLj3EES5_S5_.uses_vcc, 1
	.set _ZL33flash_attn_stream_k_fixup_uniformILi256ELi2ELi1EEvPfPK15HIP_vector_typeIfLj2EEiiiiiiS1_IjLj3EES5_S5_.uses_flat_scratch, 0
	.set _ZL33flash_attn_stream_k_fixup_uniformILi256ELi2ELi1EEvPfPK15HIP_vector_typeIfLj2EEiiiiiiS1_IjLj3EES5_S5_.has_dyn_sized_stack, 0
	.set _ZL33flash_attn_stream_k_fixup_uniformILi256ELi2ELi1EEvPfPK15HIP_vector_typeIfLj2EEiiiiiiS1_IjLj3EES5_S5_.has_recursion, 0
	.set _ZL33flash_attn_stream_k_fixup_uniformILi256ELi2ELi1EEvPfPK15HIP_vector_typeIfLj2EEiiiiiiS1_IjLj3EES5_S5_.has_indirect_call, 0
	.section	.AMDGPU.csdata,"",@progbits
; Kernel info:
; codeLenInByte = 816
; TotalNumSgprs: 30
; NumVgprs: 17
; NumAgprs: 0
; TotalNumVgprs: 17
; ScratchSize: 0
; MemoryBound: 0
; FloatMode: 240
; IeeeMode: 1
; LDSByteSize: 0 bytes/workgroup (compile time only)
; SGPRBlocks: 3
; VGPRBlocks: 2
; NumSGPRsForWavesPerEU: 30
; NumVGPRsForWavesPerEU: 17
; AccumOffset: 20
; Occupancy: 8
; WaveLimiterHint : 0
; COMPUTE_PGM_RSRC2:SCRATCH_EN: 0
; COMPUTE_PGM_RSRC2:USER_SGPR: 2
; COMPUTE_PGM_RSRC2:TRAP_HANDLER: 0
; COMPUTE_PGM_RSRC2:TGID_X_EN: 1
; COMPUTE_PGM_RSRC2:TGID_Y_EN: 1
; COMPUTE_PGM_RSRC2:TGID_Z_EN: 1
; COMPUTE_PGM_RSRC2:TIDIG_COMP_CNT: 0
; COMPUTE_PGM_RSRC3_GFX90A:ACCUM_OFFSET: 4
; COMPUTE_PGM_RSRC3_GFX90A:TG_SPLIT: 0
	.section	.text._ZL33flash_attn_stream_k_fixup_generalILi256ELi2ELi1EEvPfPK15HIP_vector_typeIfLj2EEiiiiS1_IjLj3EES5_S5_S5_,"axG",@progbits,_ZL33flash_attn_stream_k_fixup_generalILi256ELi2ELi1EEvPfPK15HIP_vector_typeIfLj2EEiiiiS1_IjLj3EES5_S5_S5_,comdat
	.globl	_ZL33flash_attn_stream_k_fixup_generalILi256ELi2ELi1EEvPfPK15HIP_vector_typeIfLj2EEiiiiS1_IjLj3EES5_S5_S5_ ; -- Begin function _ZL33flash_attn_stream_k_fixup_generalILi256ELi2ELi1EEvPfPK15HIP_vector_typeIfLj2EEiiiiS1_IjLj3EES5_S5_S5_
	.p2align	8
	.type	_ZL33flash_attn_stream_k_fixup_generalILi256ELi2ELi1EEvPfPK15HIP_vector_typeIfLj2EEiiiiS1_IjLj3EES5_S5_S5_,@function
_ZL33flash_attn_stream_k_fixup_generalILi256ELi2ELi1EEvPfPK15HIP_vector_typeIfLj2EEiiiiS1_IjLj3EES5_S5_S5_: ; @_ZL33flash_attn_stream_k_fixup_generalILi256ELi2ELi1EEvPfPK15HIP_vector_typeIfLj2EEiiiiS1_IjLj3EES5_S5_S5_
; %bb.0:
	s_load_dwordx4 s[8:11], s[0:1], 0x10
	s_load_dword s22, s[0:1], 0x50
	s_mov_b32 s12, 0
	s_waitcnt lgkmcnt(0)
	s_mul_hi_i32 s13, s11, s2
	s_cmp_lg_u64 s[12:13], 0
	s_mul_i32 s5, s11, s2
	s_cbranch_scc0 .LBB30_20
; %bb.1:
	s_add_u32 s6, s22, 0
	s_addc_u32 s7, 0, 0
	s_xor_b64 s[6:7], s[6:7], 0
	v_cvt_f32_u32_e32 v1, s6
	v_cvt_f32_u32_e32 v2, s7
	s_sub_u32 s12, 0, s6
	s_subb_u32 s18, 0, s7
	v_fmamk_f32 v1, v2, 0x4f800000, v1
	v_rcp_f32_e32 v1, v1
	s_nop 0
	v_mul_f32_e32 v1, 0x5f7ffffc, v1
	v_mul_f32_e32 v2, 0x2f800000, v1
	v_trunc_f32_e32 v2, v2
	v_fmamk_f32 v1, v2, 0xcf800000, v1
	v_cvt_u32_f32_e32 v2, v2
	v_cvt_u32_f32_e32 v1, v1
	v_readfirstlane_b32 s19, v2
	v_readfirstlane_b32 s14, v1
	s_mul_i32 s15, s12, s19
	s_mul_hi_u32 s21, s12, s14
	s_mul_i32 s20, s18, s14
	s_add_i32 s15, s21, s15
	s_add_i32 s15, s15, s20
	s_mul_i32 s23, s12, s14
	s_mul_i32 s21, s14, s15
	s_mul_hi_u32 s24, s14, s23
	s_mul_hi_u32 s20, s14, s15
	s_add_u32 s21, s24, s21
	s_addc_u32 s20, 0, s20
	s_mul_hi_u32 s25, s19, s23
	s_mul_i32 s23, s19, s23
	s_add_u32 s21, s21, s23
	s_mul_hi_u32 s24, s19, s15
	s_addc_u32 s20, s20, s25
	s_addc_u32 s21, s24, 0
	s_mul_i32 s15, s19, s15
	s_add_u32 s15, s20, s15
	s_addc_u32 s20, 0, s21
	s_add_u32 s21, s14, s15
	s_cselect_b64 s[14:15], -1, 0
	s_cmp_lg_u64 s[14:15], 0
	s_addc_u32 s19, s19, s20
	s_mul_i32 s14, s12, s19
	s_mul_hi_u32 s15, s12, s21
	s_add_i32 s14, s15, s14
	s_mul_i32 s18, s18, s21
	s_add_i32 s14, s14, s18
	s_mul_i32 s12, s12, s21
	s_mul_hi_u32 s18, s19, s12
	s_mul_i32 s20, s19, s12
	s_mul_i32 s24, s21, s14
	s_mul_hi_u32 s12, s21, s12
	s_mul_hi_u32 s23, s21, s14
	s_add_u32 s12, s12, s24
	s_addc_u32 s23, 0, s23
	s_add_u32 s12, s12, s20
	s_mul_hi_u32 s15, s19, s14
	s_addc_u32 s12, s23, s18
	s_addc_u32 s15, s15, 0
	s_mul_i32 s14, s19, s14
	s_add_u32 s12, s12, s14
	s_addc_u32 s18, 0, s15
	s_add_u32 s20, s21, s12
	s_cselect_b64 s[14:15], -1, 0
	s_cmp_lg_u64 s[14:15], 0
	s_addc_u32 s18, s19, s18
	s_ashr_i32 s14, s13, 31
	s_add_u32 s12, s5, s14
	s_mov_b32 s15, s14
	s_addc_u32 s13, s13, s14
	s_xor_b64 s[12:13], s[12:13], s[14:15]
	s_mul_i32 s21, s12, s18
	s_mul_hi_u32 s23, s12, s20
	s_mul_hi_u32 s19, s12, s18
	s_add_u32 s21, s23, s21
	s_addc_u32 s19, 0, s19
	s_mul_hi_u32 s24, s13, s20
	s_mul_i32 s20, s13, s20
	s_add_u32 s20, s21, s20
	s_mul_hi_u32 s23, s13, s18
	s_addc_u32 s19, s19, s24
	s_addc_u32 s20, s23, 0
	s_mul_i32 s18, s13, s18
	s_add_u32 s23, s19, s18
	s_addc_u32 s24, 0, s20
	s_mul_i32 s18, s6, s24
	s_mul_hi_u32 s19, s6, s23
	s_add_i32 s18, s19, s18
	s_mul_i32 s19, s7, s23
	s_add_i32 s25, s18, s19
	s_sub_i32 s20, s13, s25
	s_mul_i32 s18, s6, s23
	s_sub_u32 s12, s12, s18
	s_cselect_b64 s[18:19], -1, 0
	s_cmp_lg_u64 s[18:19], 0
	s_subb_u32 s26, s20, s7
	s_sub_u32 s27, s12, s6
	s_cselect_b64 s[20:21], -1, 0
	s_cmp_lg_u64 s[20:21], 0
	s_subb_u32 s20, s26, 0
	s_cmp_ge_u32 s20, s7
	s_cselect_b32 s21, -1, 0
	s_cmp_ge_u32 s27, s6
	s_cselect_b32 s26, -1, 0
	s_cmp_eq_u32 s20, s7
	s_cselect_b32 s20, s26, s21
	s_add_u32 s21, s23, 1
	s_addc_u32 s26, s24, 0
	s_add_u32 s27, s23, 2
	s_addc_u32 s28, s24, 0
	s_cmp_lg_u32 s20, 0
	s_cselect_b32 s20, s27, s21
	s_cselect_b32 s21, s28, s26
	s_cmp_lg_u64 s[18:19], 0
	s_subb_u32 s13, s13, s25
	s_cmp_ge_u32 s13, s7
	s_cselect_b32 s18, -1, 0
	s_cmp_ge_u32 s12, s6
	s_cselect_b32 s6, -1, 0
	s_cmp_eq_u32 s13, s7
	s_cselect_b32 s6, s6, s18
	s_cmp_lg_u32 s6, 0
	s_cselect_b32 s7, s21, s24
	s_cselect_b32 s6, s20, s23
	s_xor_b64 s[12:13], s[14:15], 0
	s_xor_b64 s[6:7], s[6:7], s[12:13]
	s_sub_u32 s6, s6, s12
	s_load_dwordx4 s[12:15], s[0:1], 0x44
	s_cbranch_execnz .LBB30_3
.LBB30_2:
	v_cvt_f32_u32_e32 v1, s22
	s_sub_i32 s6, 0, s22
	v_rcp_iflag_f32_e32 v1, v1
	s_nop 0
	v_mul_f32_e32 v1, 0x4f7ffffe, v1
	v_cvt_u32_f32_e32 v1, v1
	s_nop 0
	v_readfirstlane_b32 s7, v1
	s_mul_i32 s6, s6, s7
	s_mul_hi_u32 s6, s7, s6
	s_add_i32 s7, s7, s6
	s_mul_hi_u32 s6, s5, s7
	s_waitcnt lgkmcnt(0)
	s_mul_i32 s15, s6, s22
	s_sub_i32 s5, s5, s15
	s_add_i32 s7, s6, 1
	s_sub_i32 s15, s5, s22
	s_cmp_ge_u32 s5, s22
	s_cselect_b32 s6, s7, s6
	s_cselect_b32 s5, s15, s5
	s_add_i32 s7, s6, 1
	s_cmp_ge_u32 s5, s22
	s_cselect_b32 s6, s7, s6
.LBB30_3:
	s_add_i32 s5, s2, 1
	s_mul_hi_i32 s21, s11, s5
	s_mov_b32 s20, 0
	s_cmp_lg_u64 s[20:21], 0
	s_mul_i32 s5, s11, s5
	s_cbranch_scc0 .LBB30_21
; %bb.4:
	s_add_u32 s16, s22, 0
	s_addc_u32 s17, 0, 0
	s_xor_b64 s[18:19], s[16:17], 0
	v_cvt_f32_u32_e32 v1, s18
	v_cvt_f32_u32_e32 v2, s19
	s_sub_u32 s7, 0, s18
	s_waitcnt lgkmcnt(0)
	s_subb_u32 s15, 0, s19
	v_fmamk_f32 v1, v2, 0x4f800000, v1
	v_rcp_f32_e32 v1, v1
	s_nop 0
	v_mul_f32_e32 v1, 0x5f7ffffc, v1
	v_mul_f32_e32 v2, 0x2f800000, v1
	v_trunc_f32_e32 v2, v2
	v_fmamk_f32 v1, v2, 0xcf800000, v1
	v_cvt_u32_f32_e32 v2, v2
	v_cvt_u32_f32_e32 v1, v1
	v_readfirstlane_b32 s20, v2
	v_readfirstlane_b32 s23, v1
	s_mul_i32 s24, s7, s20
	s_mul_hi_u32 s26, s7, s23
	s_mul_i32 s25, s15, s23
	s_add_i32 s24, s26, s24
	s_add_i32 s24, s24, s25
	s_mul_i32 s27, s7, s23
	s_mul_i32 s26, s23, s24
	s_mul_hi_u32 s28, s23, s27
	s_mul_hi_u32 s25, s23, s24
	s_add_u32 s26, s28, s26
	s_addc_u32 s25, 0, s25
	s_mul_hi_u32 s29, s20, s27
	s_mul_i32 s27, s20, s27
	s_add_u32 s26, s26, s27
	s_mul_hi_u32 s28, s20, s24
	s_addc_u32 s25, s25, s29
	s_addc_u32 s26, s28, 0
	s_mul_i32 s24, s20, s24
	s_add_u32 s24, s25, s24
	s_addc_u32 s26, 0, s26
	s_add_u32 s23, s23, s24
	s_cselect_b64 s[24:25], -1, 0
	s_cmp_lg_u64 s[24:25], 0
	s_addc_u32 s20, s20, s26
	s_mul_i32 s24, s7, s20
	s_mul_hi_u32 s25, s7, s23
	s_add_i32 s24, s25, s24
	s_mul_i32 s15, s15, s23
	s_add_i32 s24, s24, s15
	s_mul_i32 s7, s7, s23
	s_mul_hi_u32 s25, s20, s7
	s_mul_i32 s26, s20, s7
	s_mul_i32 s28, s23, s24
	s_mul_hi_u32 s7, s23, s7
	s_mul_hi_u32 s27, s23, s24
	s_add_u32 s7, s7, s28
	s_addc_u32 s27, 0, s27
	s_add_u32 s7, s7, s26
	s_mul_hi_u32 s15, s20, s24
	s_addc_u32 s7, s27, s25
	s_addc_u32 s15, s15, 0
	s_mul_i32 s24, s20, s24
	s_add_u32 s7, s7, s24
	s_addc_u32 s15, 0, s15
	s_add_u32 s7, s23, s7
	s_cselect_b64 s[24:25], -1, 0
	s_cmp_lg_u64 s[24:25], 0
	s_addc_u32 s15, s20, s15
	s_ashr_i32 s24, s21, 31
	s_add_u32 s20, s5, s24
	s_mov_b32 s25, s24
	s_addc_u32 s21, s21, s24
	s_xor_b64 s[20:21], s[20:21], s[24:25]
	s_mul_i32 s26, s20, s15
	s_mul_hi_u32 s27, s20, s7
	s_mul_hi_u32 s23, s20, s15
	s_add_u32 s26, s27, s26
	s_addc_u32 s23, 0, s23
	s_mul_hi_u32 s28, s21, s7
	s_mul_i32 s7, s21, s7
	s_add_u32 s7, s26, s7
	s_mul_hi_u32 s27, s21, s15
	s_addc_u32 s7, s23, s28
	s_addc_u32 s23, s27, 0
	s_mul_i32 s15, s21, s15
	s_add_u32 s7, s7, s15
	s_addc_u32 s15, 0, s23
	s_mul_i32 s23, s18, s15
	s_mul_hi_u32 s26, s18, s7
	s_add_i32 s23, s26, s23
	s_mul_i32 s26, s19, s7
	s_add_i32 s23, s23, s26
	s_sub_i32 s28, s21, s23
	s_mul_i32 s26, s18, s7
	s_sub_u32 s20, s20, s26
	s_cselect_b64 s[26:27], -1, 0
	s_cmp_lg_u64 s[26:27], 0
	s_subb_u32 s30, s28, s19
	s_sub_u32 s31, s20, s18
	s_cselect_b64 s[28:29], -1, 0
	s_cmp_lg_u64 s[28:29], 0
	s_subb_u32 s28, s30, 0
	s_cmp_ge_u32 s28, s19
	s_cselect_b32 s29, -1, 0
	s_cmp_ge_u32 s31, s18
	s_cselect_b32 s30, -1, 0
	s_cmp_eq_u32 s28, s19
	s_cselect_b32 s28, s30, s29
	s_add_u32 s29, s7, 1
	s_addc_u32 s30, s15, 0
	s_add_u32 s31, s7, 2
	s_addc_u32 s33, s15, 0
	s_cmp_lg_u32 s28, 0
	s_cselect_b32 s28, s31, s29
	s_cselect_b32 s29, s33, s30
	s_cmp_lg_u64 s[26:27], 0
	s_subb_u32 s21, s21, s23
	s_cmp_ge_u32 s21, s19
	s_cselect_b32 s23, -1, 0
	s_cmp_ge_u32 s20, s18
	s_cselect_b32 s18, -1, 0
	s_cmp_eq_u32 s21, s19
	s_cselect_b32 s18, s18, s23
	s_cmp_lg_u32 s18, 0
	s_cselect_b32 s19, s29, s15
	s_cselect_b32 s18, s28, s7
	s_xor_b64 s[20:21], s[24:25], 0
	s_xor_b64 s[18:19], s[18:19], s[20:21]
	s_sub_u32 s18, s18, s20
	s_cbranch_execnz .LBB30_6
.LBB30_5:
	v_cvt_f32_u32_e32 v1, s22
	s_sub_i32 s7, 0, s22
	v_rcp_iflag_f32_e32 v1, v1
	s_nop 0
	v_mul_f32_e32 v1, 0x4f7ffffe, v1
	v_cvt_u32_f32_e32 v1, v1
	s_waitcnt lgkmcnt(0)
	v_readfirstlane_b32 s15, v1
	s_mul_i32 s7, s7, s15
	s_mul_hi_u32 s7, s15, s7
	s_add_i32 s15, s15, s7
	s_mul_hi_u32 s7, s5, s15
	s_mul_i32 s16, s7, s22
	s_sub_i32 s5, s5, s16
	s_add_i32 s15, s7, 1
	s_sub_i32 s16, s5, s22
	s_cmp_ge_u32 s5, s22
	s_cselect_b32 s7, s15, s7
	s_cselect_b32 s5, s16, s5
	s_add_i32 s15, s7, 1
	s_cmp_ge_u32 s5, s22
	s_cselect_b32 s18, s15, s7
.LBB30_6:
	s_cmp_eq_u32 s6, s18
	s_waitcnt lgkmcnt(0)
	s_mul_hi_u32 s5, s6, s12
	s_cselect_b64 s[16:17], -1, 0
	s_add_i32 s5, s5, s6
	s_lshr_b32 s7, s5, s13
	s_mul_i32 s5, s7, s14
	s_cmp_eq_u32 s5, s6
	s_mul_hi_u32 s5, s18, s12
	s_cselect_b64 s[20:21], -1, 0
	s_add_i32 s5, s5, s18
	s_lshr_b32 s5, s5, s13
	s_cmp_eq_u32 s7, s5
	s_mul_i32 s5, s5, s14
	s_cselect_b64 s[24:25], -1, 0
	s_cmp_lg_u32 s5, s18
	s_cselect_b64 s[18:19], -1, 0
	s_and_b64 s[18:19], s[24:25], s[18:19]
	s_or_b64 s[16:17], s[16:17], s[20:21]
	s_or_b64 s[16:17], s[16:17], s[18:19]
	s_and_b64 vcc, exec, s[16:17]
	s_cbranch_vccnz .LBB30_23
; %bb.7:
	s_load_dwordx8 s[24:31], s[0:1], 0x20
	s_load_dword s15, s[0:1], 0x40
	s_waitcnt lgkmcnt(0)
	s_mul_hi_u32 s5, s6, s24
	s_add_i32 s5, s5, s6
	s_lshr_b32 s5, s5, s25
	s_mul_i32 s16, s5, s26
	s_sub_i32 s16, s6, s16
	s_mul_hi_u32 s17, s16, s27
	s_add_i32 s17, s16, s17
	s_lshr_b32 s21, s17, s28
	s_mul_i32 s17, s21, s29
	s_sub_i32 s16, s16, s17
	;; [unrolled: 5-line block ×3, first 2 shown]
	s_mul_hi_u32 s16, s15, s12
	s_add_i32 s15, s15, s16
	s_lshr_b32 s23, s15, s13
	s_lshl_b32 s15, s23, 1
	s_add_i32 s15, s15, s3
	s_cmp_lt_i32 s15, s8
	s_cselect_b64 s[16:17], -1, 0
	s_add_i32 s15, s20, s4
	s_cmp_lt_i32 s15, s10
	s_cselect_b64 s[18:19], -1, 0
	s_and_b64 s[16:17], s[16:17], s[18:19]
	s_andn2_b64 vcc, exec, s[16:17]
	s_cbranch_vccnz .LBB30_23
; %bb.8:
	s_load_dwordx4 s[16:19], s[0:1], 0x0
	s_mov_b32 s0, 0
	s_lshl_b32 s24, s22, 3
	s_mov_b32 s25, s0
	s_add_i32 s15, s3, s4
	s_waitcnt lgkmcnt(0)
	v_mov_b32_e32 v2, s16
	v_mov_b32_e32 v3, s17
	s_lshl_b64 s[16:17], s[24:25], 2
	s_add_u32 s16, s18, s16
	s_mul_i32 s1, s5, s8
	s_addc_u32 s17, s19, s17
	s_add_i32 s1, s1, s3
	s_mul_i32 s1, s1, s9
	s_mul_i32 s21, s21, s10
	s_add_i32 s1, s1, s4
	s_add_i32 s1, s1, s21
	s_mul_i32 s5, s9, s23
	s_add_i32 s1, s1, s20
	s_lshl_b32 s5, s5, 9
	s_lshl_b32 s1, s1, 8
	s_add_i32 s5, s5, s1
	v_or_b32_e32 v4, s5, v0
	v_ashrrev_i32_e32 v5, 31, v4
	v_lshl_add_u64 v[2:3], v[4:5], 2, v[2:3]
	global_load_dword v1, v[2:3], off
	v_cvt_f32_u32_e32 v4, s22
	s_lshl_b32 s1, s2, 1
	s_add_i32 s4, s1, s15
	s_ashr_i32 s5, s4, 31
	s_lshl_b64 s[4:5], s[4:5], 3
	v_rcp_iflag_f32_e32 v4, v4
	s_add_u32 s4, s18, s4
	s_addc_u32 s5, s19, s5
	s_load_dwordx2 s[4:5], s[4:5], 0x0
	v_mul_f32_e32 v4, 0x4f7ffffe, v4
	v_cvt_u32_f32_e32 v7, v4
	s_add_i32 s24, s2, -1
	v_lshl_or_b32 v6, s15, 8, v0
	s_waitcnt lgkmcnt(0)
	v_mov_b32_e32 v0, s5
	v_mov_b32_e32 v9, s4
	s_mov_b32 s10, 0x3fb8aa3b
	s_mov_b32 s20, 0xc2ce8ed0
	;; [unrolled: 1-line block ×4, first 2 shown]
	v_mov_b32_e32 v8, 0x7f800000
	s_mul_hi_i32 s1, s24, s11
	s_cmp_lg_u64 s[0:1], 0
	s_mul_i32 s8, s24, s11
	s_cbranch_scc0 .LBB30_19
.LBB30_9:
	s_add_u32 s2, s22, 0
	s_addc_u32 s3, 0, 0
	s_xor_b64 s[2:3], s[2:3], 0
	v_cvt_f32_u32_e32 v4, s2
	v_cvt_f32_u32_e32 v5, s3
	s_sub_u32 s9, 0, s2
	s_subb_u32 s25, 0, s3
	v_fmac_f32_e32 v4, 0x4f800000, v5
	v_rcp_f32_e32 v4, v4
	s_nop 0
	v_mul_f32_e32 v4, 0x5f7ffffc, v4
	v_mul_f32_e32 v5, 0x2f800000, v4
	v_trunc_f32_e32 v5, v5
	v_fmac_f32_e32 v4, 0xcf800000, v5
	v_cvt_u32_f32_e32 v5, v5
	v_cvt_u32_f32_e32 v4, v4
	v_readfirstlane_b32 s26, v5
	v_readfirstlane_b32 s4, v4
	s_mul_i32 s5, s9, s26
	s_mul_hi_u32 s28, s9, s4
	s_mul_i32 s27, s25, s4
	s_add_i32 s5, s28, s5
	s_mul_i32 s29, s9, s4
	s_add_i32 s5, s5, s27
	s_mul_i32 s28, s4, s5
	s_mul_hi_u32 s30, s4, s29
	s_mul_hi_u32 s27, s4, s5
	s_add_u32 s28, s30, s28
	s_addc_u32 s27, 0, s27
	s_mul_hi_u32 s31, s26, s29
	s_mul_i32 s29, s26, s29
	s_add_u32 s28, s28, s29
	s_mul_hi_u32 s30, s26, s5
	s_addc_u32 s27, s27, s31
	s_addc_u32 s28, s30, 0
	s_mul_i32 s5, s26, s5
	s_add_u32 s5, s27, s5
	s_addc_u32 s27, 0, s28
	s_add_u32 s28, s4, s5
	s_cselect_b64 s[4:5], -1, 0
	s_cmp_lg_u64 s[4:5], 0
	s_addc_u32 s26, s26, s27
	s_mul_i32 s4, s9, s26
	s_mul_hi_u32 s5, s9, s28
	s_add_i32 s4, s5, s4
	s_mul_i32 s25, s25, s28
	s_add_i32 s4, s4, s25
	s_mul_i32 s9, s9, s28
	s_mul_hi_u32 s25, s26, s9
	s_mul_i32 s27, s26, s9
	s_mul_i32 s30, s28, s4
	s_mul_hi_u32 s9, s28, s9
	s_mul_hi_u32 s29, s28, s4
	s_add_u32 s9, s9, s30
	s_addc_u32 s29, 0, s29
	s_add_u32 s9, s9, s27
	s_mul_hi_u32 s5, s26, s4
	s_addc_u32 s9, s29, s25
	s_addc_u32 s5, s5, 0
	s_mul_i32 s4, s26, s4
	s_add_u32 s4, s9, s4
	s_addc_u32 s9, 0, s5
	s_add_u32 s25, s28, s4
	s_cselect_b64 s[4:5], -1, 0
	s_cmp_lg_u64 s[4:5], 0
	s_addc_u32 s9, s26, s9
	s_ashr_i32 s4, s1, 31
	s_add_u32 s26, s8, s4
	s_mov_b32 s5, s4
	s_addc_u32 s27, s1, s4
	s_xor_b64 s[26:27], s[26:27], s[4:5]
	s_mul_i32 s28, s26, s9
	s_mul_hi_u32 s29, s26, s25
	s_mul_hi_u32 s1, s26, s9
	s_add_u32 s28, s29, s28
	s_addc_u32 s1, 0, s1
	s_mul_hi_u32 s30, s27, s25
	s_mul_i32 s25, s27, s25
	s_add_u32 s25, s28, s25
	s_mul_hi_u32 s29, s27, s9
	s_addc_u32 s1, s1, s30
	s_addc_u32 s25, s29, 0
	s_mul_i32 s9, s27, s9
	s_add_u32 s1, s1, s9
	s_addc_u32 s9, 0, s25
	s_mul_i32 s25, s2, s9
	s_mul_hi_u32 s28, s2, s1
	s_add_i32 s25, s28, s25
	s_mul_i32 s28, s3, s1
	s_add_i32 s25, s25, s28
	s_sub_i32 s30, s27, s25
	s_mul_i32 s28, s2, s1
	s_sub_u32 s26, s26, s28
	s_cselect_b64 s[28:29], -1, 0
	s_cmp_lg_u64 s[28:29], 0
	s_subb_u32 s33, s30, s3
	s_sub_u32 s34, s26, s2
	s_cselect_b64 s[30:31], -1, 0
	s_cmp_lg_u64 s[30:31], 0
	s_subb_u32 s30, s33, 0
	s_cmp_ge_u32 s30, s3
	s_cselect_b32 s31, -1, 0
	s_cmp_ge_u32 s34, s2
	s_cselect_b32 s33, -1, 0
	s_cmp_eq_u32 s30, s3
	s_cselect_b32 s30, s33, s31
	s_add_u32 s31, s1, 1
	s_addc_u32 s33, s9, 0
	s_add_u32 s34, s1, 2
	s_addc_u32 s35, s9, 0
	s_cmp_lg_u32 s30, 0
	s_cselect_b32 s30, s34, s31
	s_cselect_b32 s31, s35, s33
	s_cmp_lg_u64 s[28:29], 0
	s_subb_u32 s25, s27, s25
	s_cmp_ge_u32 s25, s3
	s_cselect_b32 s27, -1, 0
	s_cmp_ge_u32 s26, s2
	s_cselect_b32 s2, -1, 0
	s_cmp_eq_u32 s25, s3
	s_cselect_b32 s2, s2, s27
	s_cmp_lg_u32 s2, 0
	s_cselect_b32 s3, s31, s9
	s_cselect_b32 s2, s30, s1
	s_xor_b64 s[4:5], s[4:5], 0
	s_xor_b64 s[2:3], s[2:3], s[4:5]
	s_sub_u32 s4, s2, s4
	s_cbranch_execnz .LBB30_11
.LBB30_10:
	s_sub_i32 s1, 0, s22
	v_readfirstlane_b32 s2, v7
	s_mul_i32 s1, s1, s2
	s_mul_hi_u32 s1, s2, s1
	s_add_i32 s2, s2, s1
	s_mul_hi_u32 s1, s8, s2
	s_mul_i32 s3, s1, s22
	s_sub_i32 s3, s8, s3
	s_add_i32 s2, s1, 1
	s_sub_i32 s4, s3, s22
	s_cmp_ge_u32 s3, s22
	s_cselect_b32 s1, s2, s1
	s_cselect_b32 s3, s4, s3
	s_add_i32 s2, s1, 1
	s_cmp_ge_u32 s3, s22
	s_cselect_b32 s4, s2, s1
.LBB30_11:
	s_cmp_lg_u32 s6, s4
	s_cbranch_scc0 .LBB30_15
; %bb.12:
	s_add_i32 s1, s24, s22
	s_lshl_b32 s1, s1, 1
	s_add_i32 s2, s1, s15
	s_mov_b32 s3, s0
	s_lshl_b64 s[2:3], s[2:3], 3
	s_add_u32 s8, s18, s2
	s_mul_hi_u32 s1, s4, s12
	s_addc_u32 s9, s19, s3
	s_add_i32 s1, s1, s4
	s_lshr_b32 s1, s1, s13
	s_mul_i32 s2, s1, s14
	s_cmp_eq_u32 s2, s4
	s_cselect_b64 s[2:3], -1, 0
	s_cmp_lt_u32 s1, s7
	s_cselect_b64 s[26:27], -1, 0
	s_or_b64 s[26:27], s[26:27], s[2:3]
	s_mov_b64 s[2:3], -1
	s_and_b64 vcc, exec, s[26:27]
	s_mov_b32 s1, s24
	s_mov_b32 s25, s6
	s_cbranch_vccnz .LBB30_14
; %bb.13:
	s_add_i32 s1, s24, -1
	s_mov_b64 s[2:3], 0
	s_mov_b32 s25, s4
.LBB30_14:
	v_lshl_add_u32 v4, s24, 9, v6
	v_ashrrev_i32_e32 v5, 31, v4
	v_lshl_add_u64 v[4:5], v[4:5], 2, s[16:17]
	global_load_dword v5, v[4:5], off
	s_load_dwordx2 s[4:5], s[8:9], 0x0
	v_max_f32_e32 v4, v9, v9
	s_waitcnt lgkmcnt(0)
	v_max_f32_e64 v10, s4, s4
	v_max_f32_e32 v10, v4, v10
	v_sub_f32_e32 v11, v9, v10
	v_sub_f32_e32 v13, s4, v10
	v_mul_f32_e32 v4, 0x3fb8aa3b, v11
	v_mul_f32_e32 v12, 0x3fb8aa3b, v13
	v_fma_f32 v14, v11, s10, -v4
	v_rndne_f32_e32 v15, v4
	v_fma_f32 v16, v13, s10, -v12
	v_rndne_f32_e32 v17, v12
	v_fmac_f32_e32 v14, 0x32a5705f, v11
	v_sub_f32_e32 v4, v4, v15
	v_fmac_f32_e32 v16, 0x32a5705f, v13
	v_sub_f32_e32 v12, v12, v17
	v_add_f32_e32 v4, v4, v14
	v_cvt_i32_f32_e32 v15, v15
	v_add_f32_e32 v12, v12, v16
	v_exp_f32_e32 v14, v4
	v_cvt_i32_f32_e32 v17, v17
	v_exp_f32_e32 v12, v12
	v_cmp_ngt_f32_e32 vcc, s20, v11
	v_ldexp_f32 v14, v14, v15
	v_mov_b32_e32 v4, s5
	v_ldexp_f32 v12, v12, v17
	v_cndmask_b32_e32 v14, 0, v14, vcc
	v_cmp_ngt_f32_e32 vcc, s20, v13
	s_nop 1
	v_cndmask_b32_e32 v12, 0, v12, vcc
	v_cmp_nlt_f32_e32 vcc, s21, v11
	s_nop 1
	v_cndmask_b32_e32 v14, v8, v14, vcc
	v_cmp_nlt_f32_e32 vcc, s21, v13
	s_nop 1
	v_cndmask_b32_e32 v15, v8, v12, vcc
	v_cmp_le_f32_e32 vcc, s23, v11
	s_nop 1
	v_cndmask_b32_e32 v12, 0, v14, vcc
	v_cmp_le_f32_e32 vcc, s23, v13
	s_nop 1
	v_cndmask_b32_e32 v14, 0, v15, vcc
	s_waitcnt vmcnt(0)
	v_pk_mul_f32 v[4:5], v[4:5], v[14:15] op_sel_hi:[1,0]
	s_nop 0
	v_pk_fma_f32 v[4:5], v[0:1], v[12:13], v[4:5] op_sel_hi:[1,0,1]
	s_cbranch_execz .LBB30_16
	s_branch .LBB30_17
.LBB30_15:
                                        ; implicit-def: $vgpr4_vgpr5
                                        ; implicit-def: $sgpr2_sgpr3
                                        ; implicit-def: $vgpr10
                                        ; implicit-def: $sgpr1
                                        ; implicit-def: $sgpr25
.LBB30_16:
	s_add_i32 s1, s24, -1
	s_mov_b64 s[2:3], 0
	s_mov_b32 s25, s6
	v_mov_b32_e32 v10, v9
	s_waitcnt vmcnt(0)
	v_mov_b64_e32 v[4:5], v[0:1]
.LBB30_17:
	s_andn2_b64 vcc, exec, s[2:3]
	s_cbranch_vccz .LBB30_22
; %bb.18:
	s_mov_b32 s6, s25
	s_mov_b32 s24, s1
	v_mov_b32_e32 v9, v10
	s_waitcnt vmcnt(0)
	v_mov_b64_e32 v[0:1], v[4:5]
	s_mul_hi_i32 s1, s24, s11
	s_cmp_lg_u64 s[0:1], 0
	s_mul_i32 s8, s24, s11
	s_cbranch_scc1 .LBB30_9
.LBB30_19:
                                        ; implicit-def: $sgpr4_sgpr5
	s_branch .LBB30_10
.LBB30_20:
                                        ; implicit-def: $sgpr6_sgpr7
	s_load_dwordx4 s[12:15], s[0:1], 0x44
	s_branch .LBB30_2
.LBB30_21:
                                        ; implicit-def: $sgpr18_sgpr19
	s_branch .LBB30_5
.LBB30_22:
	v_div_scale_f32 v0, s[0:1], v4, v4, v5
	s_waitcnt vmcnt(0)
	v_rcp_f32_e32 v1, v0
	v_div_scale_f32 v6, vcc, v5, v4, v5
	v_fma_f32 v7, -v0, v1, 1.0
	v_fmac_f32_e32 v1, v7, v1
	v_mul_f32_e32 v7, v6, v1
	v_fma_f32 v8, -v0, v7, v6
	v_fmac_f32_e32 v7, v8, v1
	v_fma_f32 v0, -v0, v7, v6
	v_div_fmas_f32 v0, v0, v1, v7
	v_div_fixup_f32 v0, v0, v4, v5
	global_store_dword v[2:3], v0, off
.LBB30_23:
	s_endpgm
	.section	.rodata,"a",@progbits
	.p2align	6, 0x0
	.amdhsa_kernel _ZL33flash_attn_stream_k_fixup_generalILi256ELi2ELi1EEvPfPK15HIP_vector_typeIfLj2EEiiiiS1_IjLj3EES5_S5_S5_
		.amdhsa_group_segment_fixed_size 0
		.amdhsa_private_segment_fixed_size 0
		.amdhsa_kernarg_size 336
		.amdhsa_user_sgpr_count 2
		.amdhsa_user_sgpr_dispatch_ptr 0
		.amdhsa_user_sgpr_queue_ptr 0
		.amdhsa_user_sgpr_kernarg_segment_ptr 1
		.amdhsa_user_sgpr_dispatch_id 0
		.amdhsa_user_sgpr_kernarg_preload_length 0
		.amdhsa_user_sgpr_kernarg_preload_offset 0
		.amdhsa_user_sgpr_private_segment_size 0
		.amdhsa_uses_dynamic_stack 0
		.amdhsa_enable_private_segment 0
		.amdhsa_system_sgpr_workgroup_id_x 1
		.amdhsa_system_sgpr_workgroup_id_y 1
		.amdhsa_system_sgpr_workgroup_id_z 1
		.amdhsa_system_sgpr_workgroup_info 0
		.amdhsa_system_vgpr_workitem_id 0
		.amdhsa_next_free_vgpr 18
		.amdhsa_next_free_sgpr 36
		.amdhsa_accum_offset 20
		.amdhsa_reserve_vcc 1
		.amdhsa_float_round_mode_32 0
		.amdhsa_float_round_mode_16_64 0
		.amdhsa_float_denorm_mode_32 3
		.amdhsa_float_denorm_mode_16_64 3
		.amdhsa_dx10_clamp 1
		.amdhsa_ieee_mode 1
		.amdhsa_fp16_overflow 0
		.amdhsa_tg_split 0
		.amdhsa_exception_fp_ieee_invalid_op 0
		.amdhsa_exception_fp_denorm_src 0
		.amdhsa_exception_fp_ieee_div_zero 0
		.amdhsa_exception_fp_ieee_overflow 0
		.amdhsa_exception_fp_ieee_underflow 0
		.amdhsa_exception_fp_ieee_inexact 0
		.amdhsa_exception_int_div_zero 0
	.end_amdhsa_kernel
	.section	.text._ZL33flash_attn_stream_k_fixup_generalILi256ELi2ELi1EEvPfPK15HIP_vector_typeIfLj2EEiiiiS1_IjLj3EES5_S5_S5_,"axG",@progbits,_ZL33flash_attn_stream_k_fixup_generalILi256ELi2ELi1EEvPfPK15HIP_vector_typeIfLj2EEiiiiS1_IjLj3EES5_S5_S5_,comdat
.Lfunc_end30:
	.size	_ZL33flash_attn_stream_k_fixup_generalILi256ELi2ELi1EEvPfPK15HIP_vector_typeIfLj2EEiiiiS1_IjLj3EES5_S5_S5_, .Lfunc_end30-_ZL33flash_attn_stream_k_fixup_generalILi256ELi2ELi1EEvPfPK15HIP_vector_typeIfLj2EEiiiiS1_IjLj3EES5_S5_S5_
                                        ; -- End function
	.set _ZL33flash_attn_stream_k_fixup_generalILi256ELi2ELi1EEvPfPK15HIP_vector_typeIfLj2EEiiiiS1_IjLj3EES5_S5_S5_.num_vgpr, 18
	.set _ZL33flash_attn_stream_k_fixup_generalILi256ELi2ELi1EEvPfPK15HIP_vector_typeIfLj2EEiiiiS1_IjLj3EES5_S5_S5_.num_agpr, 0
	.set _ZL33flash_attn_stream_k_fixup_generalILi256ELi2ELi1EEvPfPK15HIP_vector_typeIfLj2EEiiiiS1_IjLj3EES5_S5_S5_.numbered_sgpr, 36
	.set _ZL33flash_attn_stream_k_fixup_generalILi256ELi2ELi1EEvPfPK15HIP_vector_typeIfLj2EEiiiiS1_IjLj3EES5_S5_S5_.num_named_barrier, 0
	.set _ZL33flash_attn_stream_k_fixup_generalILi256ELi2ELi1EEvPfPK15HIP_vector_typeIfLj2EEiiiiS1_IjLj3EES5_S5_S5_.private_seg_size, 0
	.set _ZL33flash_attn_stream_k_fixup_generalILi256ELi2ELi1EEvPfPK15HIP_vector_typeIfLj2EEiiiiS1_IjLj3EES5_S5_S5_.uses_vcc, 1
	.set _ZL33flash_attn_stream_k_fixup_generalILi256ELi2ELi1EEvPfPK15HIP_vector_typeIfLj2EEiiiiS1_IjLj3EES5_S5_S5_.uses_flat_scratch, 0
	.set _ZL33flash_attn_stream_k_fixup_generalILi256ELi2ELi1EEvPfPK15HIP_vector_typeIfLj2EEiiiiS1_IjLj3EES5_S5_S5_.has_dyn_sized_stack, 0
	.set _ZL33flash_attn_stream_k_fixup_generalILi256ELi2ELi1EEvPfPK15HIP_vector_typeIfLj2EEiiiiS1_IjLj3EES5_S5_S5_.has_recursion, 0
	.set _ZL33flash_attn_stream_k_fixup_generalILi256ELi2ELi1EEvPfPK15HIP_vector_typeIfLj2EEiiiiS1_IjLj3EES5_S5_S5_.has_indirect_call, 0
	.section	.AMDGPU.csdata,"",@progbits
; Kernel info:
; codeLenInByte = 2932
; TotalNumSgprs: 42
; NumVgprs: 18
; NumAgprs: 0
; TotalNumVgprs: 18
; ScratchSize: 0
; MemoryBound: 0
; FloatMode: 240
; IeeeMode: 1
; LDSByteSize: 0 bytes/workgroup (compile time only)
; SGPRBlocks: 5
; VGPRBlocks: 2
; NumSGPRsForWavesPerEU: 42
; NumVGPRsForWavesPerEU: 18
; AccumOffset: 20
; Occupancy: 8
; WaveLimiterHint : 0
; COMPUTE_PGM_RSRC2:SCRATCH_EN: 0
; COMPUTE_PGM_RSRC2:USER_SGPR: 2
; COMPUTE_PGM_RSRC2:TRAP_HANDLER: 0
; COMPUTE_PGM_RSRC2:TGID_X_EN: 1
; COMPUTE_PGM_RSRC2:TGID_Y_EN: 1
; COMPUTE_PGM_RSRC2:TGID_Z_EN: 1
; COMPUTE_PGM_RSRC2:TIDIG_COMP_CNT: 0
; COMPUTE_PGM_RSRC3_GFX90A:ACCUM_OFFSET: 4
; COMPUTE_PGM_RSRC3_GFX90A:TG_SPLIT: 0
	.section	.text._ZL18flash_attn_ext_vecILi256ELi2EL9ggml_type7ELS0_7ELb1EEvPKcS2_S2_S2_S2_PKiPfP15HIP_vector_typeIfLj2EEffffjfiS6_IjLj3EEiiiiiiiiiiiliiliiiiil,"axG",@progbits,_ZL18flash_attn_ext_vecILi256ELi2EL9ggml_type7ELS0_7ELb1EEvPKcS2_S2_S2_S2_PKiPfP15HIP_vector_typeIfLj2EEffffjfiS6_IjLj3EEiiiiiiiiiiiliiliiiiil,comdat
	.globl	_ZL18flash_attn_ext_vecILi256ELi2EL9ggml_type7ELS0_7ELb1EEvPKcS2_S2_S2_S2_PKiPfP15HIP_vector_typeIfLj2EEffffjfiS6_IjLj3EEiiiiiiiiiiiliiliiiiil ; -- Begin function _ZL18flash_attn_ext_vecILi256ELi2EL9ggml_type7ELS0_7ELb1EEvPKcS2_S2_S2_S2_PKiPfP15HIP_vector_typeIfLj2EEffffjfiS6_IjLj3EEiiiiiiiiiiiliiliiiiil
	.p2align	8
	.type	_ZL18flash_attn_ext_vecILi256ELi2EL9ggml_type7ELS0_7ELb1EEvPKcS2_S2_S2_S2_PKiPfP15HIP_vector_typeIfLj2EEffffjfiS6_IjLj3EEiiiiiiiiiiiliiliiiiil,@function
_ZL18flash_attn_ext_vecILi256ELi2EL9ggml_type7ELS0_7ELb1EEvPKcS2_S2_S2_S2_PKiPfP15HIP_vector_typeIfLj2EEffffjfiS6_IjLj3EEiiiiiiiiiiiliiliiiiil: ; @_ZL18flash_attn_ext_vecILi256ELi2EL9ggml_type7ELS0_7ELb1EEvPKcS2_S2_S2_S2_PKiPfP15HIP_vector_typeIfLj2EEffffjfiS6_IjLj3EEiiiiiiiiiiiliiliiiiil
; %bb.0:
	s_load_dwordx2 s[34:35], s[2:3], 0x64
	s_load_dwordx2 s[48:49], s[2:3], 0x80
	;; [unrolled: 1-line block ×3, first 2 shown]
	s_load_dwordx4 s[28:31], s[2:3], 0x40
	s_load_dwordx2 s[38:39], s[2:3], 0x50
	s_waitcnt lgkmcnt(0)
	v_cvt_f32_u32_e32 v1, s35
	s_sub_i32 s7, 0, s35
	v_mov_b32_e32 v194, 1.0
	s_mov_b32 s40, s28
	v_rcp_iflag_f32_e32 v1, v1
	s_mov_b32 s41, s29
	v_mul_f32_e32 v1, 0x4f7ffffe, v1
	v_cvt_u32_f32_e32 v1, v1
	s_nop 0
	v_readfirstlane_b32 s8, v1
	s_mul_i32 s7, s7, s8
	s_mul_hi_u32 s7, s8, s7
	s_add_i32 s8, s8, s7
	s_mul_hi_u32 s7, s6, s8
	s_mul_i32 s8, s7, s35
	s_sub_i32 s8, s6, s8
	s_add_i32 s9, s7, 1
	s_sub_i32 s12, s8, s35
	s_cmp_ge_u32 s8, s35
	s_cselect_b32 s7, s9, s7
	s_cselect_b32 s8, s12, s8
	s_add_i32 s9, s7, 1
	s_cmp_ge_u32 s8, s35
	s_cselect_b32 s50, s9, s7
	s_abs_i32 s7, s49
	v_cvt_f32_u32_e32 v1, s7
	s_mul_i32 s12, s50, s35
	s_sub_i32 s13, 0, s7
	s_sub_i32 s36, s6, s12
	v_rcp_iflag_f32_e32 v1, v1
	s_abs_i32 s9, s35
	s_xor_b32 s8, s35, s49
	s_ashr_i32 s8, s8, 31
	v_mul_f32_e32 v1, 0x4f7ffffe, v1
	v_cvt_u32_f32_e32 v1, v1
	s_nop 0
	v_readfirstlane_b32 s6, v1
	s_mul_i32 s13, s13, s6
	s_mul_hi_u32 s12, s6, s13
	s_add_i32 s6, s6, s12
	s_mul_hi_u32 s6, s9, s6
	s_mul_i32 s12, s6, s7
	s_sub_i32 s9, s9, s12
	s_add_i32 s13, s6, 1
	s_sub_i32 s12, s9, s7
	s_cmp_ge_u32 s9, s7
	s_cselect_b32 s6, s13, s6
	s_cselect_b32 s9, s12, s9
	s_add_i32 s12, s6, 1
	s_cmp_ge_u32 s9, s7
	s_cselect_b32 s6, s12, s6
	s_xor_b32 s6, s6, s8
	s_sub_i32 s43, s6, s8
	s_abs_i32 s10, s10
	s_abs_i32 s42, s43
	v_cvt_f32_u32_e32 v1, s10
	v_cvt_f32_u32_e32 v2, s42
	v_cmp_le_f32_e64 s[6:7], s29, 0
	s_and_b64 vcc, exec, s[6:7]
	v_rcp_iflag_f32_e32 v1, v1
	v_rcp_iflag_f32_e32 v2, v2
	v_mul_f32_e32 v1, 0x4f7ffffe, v1
	v_mul_f32_e32 v2, 0x4f7ffffe, v2
	v_cvt_u32_f32_e32 v1, v1
	v_cvt_u32_f32_e32 v2, v2
	v_readfirstlane_b32 s44, v1
	v_readfirstlane_b32 s45, v2
	s_cbranch_vccnz .LBB31_2
; %bb.1:
	v_mov_b32_e32 v1, s38
	v_sub_co_u32_e32 v1, vcc, s36, v1
	v_mov_b32_e32 v2, s31
	v_mov_b32_e32 v3, s30
	s_add_i32 s6, s36, 1
	v_lshlrev_b32_e32 v1, 1, v1
	v_cndmask_b32_e32 v2, v2, v3, vcc
	v_or_b32_e32 v1, 1, v1
	v_mov_b32_e32 v3, s6
	v_cndmask_b32_e32 v1, v1, v3, vcc
	v_cvt_f32_i32_e32 v1, v1
	v_cmp_neq_f32_e32 vcc, 1.0, v2
	s_mov_b32 s6, 0x3f2aaaab
	s_movk_i32 s8, 0x204
	v_cndmask_b32_e32 v1, 1.0, v1, vcc
	v_cmp_neq_f32_e32 vcc, 0, v1
	s_mov_b32 s7, 0x42b17218
	s_mov_b32 s9, 0x3fb8aa3b
	v_cndmask_b32_e32 v18, 1.0, v2, vcc
	v_frexp_mant_f32_e64 v2, |v18|
	v_cmp_gt_f32_e32 vcc, s6, v2
	s_mov_b32 s6, 0x3f317218
	s_brev_b32 s14, -2
	v_cndmask_b32_e64 v3, 1.0, 2.0, vcc
	v_mul_f32_e32 v2, v2, v3
	v_add_f32_e32 v5, 1.0, v2
	v_rcp_f32_e32 v10, v5
	v_add_f32_e32 v3, -1.0, v5
	v_sub_f32_e32 v7, v2, v3
	v_add_f32_e32 v3, -1.0, v2
	v_mul_f32_e32 v11, v3, v10
	v_mul_f32_e32 v4, v5, v11
	v_fma_f32 v6, v11, v5, -v4
	v_fmac_f32_e32 v6, v11, v7
	v_add_f32_e32 v2, v4, v6
	v_sub_f32_e32 v5, v3, v2
	v_pk_add_f32 v[8:9], v[2:3], v[4:5] neg_lo:[0,1] neg_hi:[0,1]
	v_mov_b32_e32 v7, v2
	v_pk_add_f32 v[2:3], v[8:9], v[6:7] neg_lo:[0,1] neg_hi:[0,1]
	v_mov_b32_e32 v6, 0x3e91f4c4
	v_add_f32_e32 v2, v2, v3
	v_add_f32_e32 v2, v5, v2
	v_mul_f32_e32 v3, v10, v2
	v_add_f32_e32 v2, v11, v3
	v_sub_f32_e32 v4, v2, v11
	v_sub_f32_e32 v12, v3, v4
	v_mul_f32_e32 v3, v2, v2
	v_fma_f32 v5, v2, v2, -v3
	v_add_f32_e32 v4, v12, v12
	v_fmac_f32_e32 v5, v2, v4
	v_add_f32_e32 v4, v3, v5
	v_fmac_f32_e32 v6, 0x3e76c4e1, v4
	v_fmaak_f32 v6, v4, v6, 0x3ecccdef
	v_sub_f32_e32 v3, v4, v3
	v_sub_f32_e32 v13, v5, v3
	v_mul_f32_e32 v3, v4, v6
	v_fma_f32 v5, v4, v6, -v3
	v_fmac_f32_e32 v5, v13, v6
	v_add_f32_e32 v6, v3, v5
	v_add_f32_e32 v7, 0x3f2aaaaa, v6
	v_sub_f32_e32 v3, v6, v3
	v_sub_f32_e32 v3, v5, v3
	v_add_f32_e32 v5, 0xbf2aaaaa, v7
	v_add_f32_e32 v3, 0x31739010, v3
	v_sub_f32_e32 v5, v6, v5
	v_pk_mul_f32 v[8:9], v[2:3], v[4:5]
	v_pk_add_f32 v[10:11], v[2:3], v[4:5]
	v_fma_f32 v6, v4, v2, -v8
	v_fmac_f32_e32 v6, v4, v12
	v_mov_b32_e32 v9, v11
	v_fmac_f32_e32 v6, v13, v2
	v_pk_add_f32 v[4:5], v[8:9], v[6:7]
	v_ldexp_f32 v14, v12, 1
	v_sub_f32_e32 v3, v4, v8
	v_sub_f32_e32 v3, v6, v3
	;; [unrolled: 1-line block ×3, first 2 shown]
	v_add_f32_e32 v9, v11, v6
	v_pk_mul_f32 v[6:7], v[4:5], v[4:5] op_sel:[0,1] op_sel_hi:[1,0]
	v_cvt_f64_f32_e64 v[10:11], |v18|
	v_frexp_exp_i32_f64_e32 v7, v[10:11]
	v_subbrev_co_u32_e32 v7, vcc, 0, v7, vcc
	v_cvt_f32_i32_e32 v7, v7
	v_fma_f32 v8, v4, v5, -v6
	v_fmac_f32_e32 v8, v4, v9
	v_fmac_f32_e32 v8, v3, v5
	v_mul_f32_e32 v4, 0x3f317218, v7
	v_fma_f32 v3, v7, s6, -v4
	v_fmamk_f32 v10, v7, 0xb102e308, v3
	v_ldexp_f32 v11, v2, 1
	v_add_f32_e32 v5, v6, v8
	v_pk_add_f32 v[2:3], v[4:5], v[10:11]
	v_mov_b32_e32 v12, v5
	v_mov_b32_e32 v13, v3
	;; [unrolled: 1-line block ×3, first 2 shown]
	v_pk_add_f32 v[6:7], v[12:13], v[6:7] neg_lo:[0,1] neg_hi:[0,1]
	v_mov_b32_e32 v9, v5
	v_pk_add_f32 v[6:7], v[8:9], v[6:7] neg_lo:[0,1] neg_hi:[0,1]
	v_mov_b32_e32 v11, v2
	v_add_f32_e32 v5, v14, v6
	v_add_f32_e32 v5, v5, v7
	v_pk_add_f32 v[6:7], v[2:3], v[4:5] neg_lo:[0,1] neg_hi:[0,1]
	v_pk_add_f32 v[8:9], v[2:3], v[4:5]
	v_mov_b32_e32 v16, v3
	v_mov_b32_e32 v7, v9
	v_pk_add_f32 v[12:13], v[10:11], v[6:7] neg_lo:[0,1] neg_hi:[0,1]
	v_pk_add_f32 v[6:7], v[10:11], v[6:7]
	v_mov_b32_e32 v4, v5
	v_pk_add_f32 v[10:11], v[6:7], v[2:3] op_sel:[1,0] op_sel_hi:[0,1] neg_lo:[0,1] neg_hi:[0,1]
	v_pk_add_f32 v[14:15], v[8:9], v[10:11] op_sel_hi:[1,0] neg_lo:[0,1] neg_hi:[0,1]
	v_mov_b32_e32 v8, v9
	v_mov_b32_e32 v9, v7
	;; [unrolled: 1-line block ×3, first 2 shown]
	v_pk_add_f32 v[8:9], v[8:9], v[16:17] neg_lo:[0,1] neg_hi:[0,1]
	v_mov_b32_e32 v5, v2
	v_pk_add_f32 v[2:3], v[4:5], v[8:9] neg_lo:[0,1] neg_hi:[0,1]
	v_mov_b32_e32 v14, v12
	v_pk_add_f32 v[4:5], v[14:15], v[2:3]
	v_mov_b32_e32 v13, v7
	v_pk_add_f32 v[8:9], v[4:5], v[4:5] op_sel:[0,1] op_sel_hi:[1,0]
	s_mov_b32 s6, 0x7f800000
	v_pk_add_f32 v[6:7], v[6:7], v[8:9] op_sel:[1,0] op_sel_hi:[0,1]
	v_mov_b32_e32 v5, v6
	v_pk_add_f32 v[10:11], v[4:5], v[12:13] neg_lo:[0,1] neg_hi:[0,1]
	v_mov_b32_e32 v3, v8
	v_sub_f32_e32 v4, v4, v10
	v_pk_add_f32 v[2:3], v[2:3], v[10:11] neg_lo:[0,1] neg_hi:[0,1]
	v_sub_f32_e32 v4, v12, v4
	v_add_f32_e32 v2, v2, v4
	v_add_f32_e32 v2, v2, v3
	;; [unrolled: 1-line block ×3, first 2 shown]
	v_sub_f32_e32 v4, v3, v6
	v_sub_f32_e32 v2, v2, v4
	v_mul_f32_e32 v4, v1, v3
	v_fma_f32 v3, v1, v3, -v4
	v_fmac_f32_e32 v3, v1, v2
	v_add_f32_e32 v2, v4, v3
	v_cmp_class_f32_e64 vcc, v4, s8
	v_sub_f32_e32 v5, v2, v4
	v_sub_f32_e32 v3, v3, v5
	v_cndmask_b32_e32 v2, v2, v4, vcc
	v_mov_b32_e32 v4, 0x37000000
	v_cmp_eq_f32_e32 vcc, s7, v2
	v_cmp_class_f32_e64 s[12:13], v18, s8
	s_nop 0
	v_cndmask_b32_e32 v4, 0, v4, vcc
	v_sub_f32_e32 v5, v2, v4
	v_mul_f32_e32 v6, 0x3fb8aa3b, v5
	v_fma_f32 v7, v5, s9, -v6
	v_rndne_f32_e32 v8, v6
	v_fmamk_f32 v7, v5, 0x32a5705f, v7
	v_sub_f32_e32 v6, v6, v8
	v_add_f32_e32 v6, v6, v7
	v_exp_f32_e32 v6, v6
	v_cvt_i32_f32_e32 v7, v8
	v_cmp_neq_f32_e64 vcc, |v2|, s6
	s_mov_b32 s6, 0xc2ce8ed0
	s_nop 0
	v_cndmask_b32_e32 v2, 0, v3, vcc
	v_ldexp_f32 v3, v6, v7
	v_cmp_ngt_f32_e32 vcc, s6, v5
	v_add_f32_e32 v2, v4, v2
	v_mov_b32_e32 v4, 0x7f800000
	v_cndmask_b32_e32 v3, 0, v3, vcc
	v_cmp_nlt_f32_e32 vcc, s7, v5
	v_mov_b32_e32 v5, 0x7fc00000
	s_nop 0
	v_cndmask_b32_e32 v3, v4, v3, vcc
	v_fma_f32 v2, v3, v2, v3
	v_cmp_class_f32_e64 vcc, v3, s8
	v_cmp_gt_f32_e64 s[8:9], 0, v1
	s_nop 0
	v_cndmask_b32_e32 v2, v2, v3, vcc
	v_trunc_f32_e32 v3, v1
	v_cmp_eq_f32_e32 vcc, v3, v1
	v_mul_f32_e32 v3, 0.5, v1
	v_trunc_f32_e32 v6, v3
	v_cmp_neq_f32_e64 s[6:7], v6, v3
	s_and_b64 s[6:7], vcc, s[6:7]
	s_nop 0
	v_cndmask_b32_e64 v3, 1.0, v18, s[6:7]
	v_bfi_b32 v2, s14, v2, v3
	v_cndmask_b32_e32 v3, v5, v2, vcc
	v_cmp_gt_f32_e32 vcc, 0, v18
	s_nop 1
	v_cndmask_b32_e32 v2, v2, v3, vcc
	v_cmp_eq_f32_e32 vcc, 0, v18
	s_xor_b64 s[8:9], s[8:9], vcc
	v_cndmask_b32_e64 v1, v4, 0, s[8:9]
	v_cndmask_b32_e64 v3, 0, v18, s[6:7]
	v_bfi_b32 v1, s14, v1, v3
	s_or_b64 vcc, vcc, s[12:13]
	v_cndmask_b32_e32 v1, v2, v1, vcc
	v_cmp_o_f32_e32 vcc, v18, v18
	s_nop 1
	v_cndmask_b32_e32 v194, v5, v1, vcc
.LBB31_2:
	s_load_dwordx2 s[6:7], s[0:1], 0x4
	s_load_dwordx16 s[12:27], s[2:3], 0x0
	v_bfe_u32 v175, v0, 10, 10
	v_and_b32_e32 v173, 0x3ff, v0
	v_bfe_u32 v0, v0, 20, 10
	s_waitcnt lgkmcnt(0)
	s_lshr_b32 s0, s6, 16
	v_mul_u32_u24_e32 v1, s7, v175
	s_mul_i32 s0, s0, s7
	v_mad_u32_u24 v1, s0, v173, v1
	v_add_lshl_u32 v32, v1, v0, 5
	v_mov_b32_e32 v28, 0
	v_add_u32_e32 v0, 0xa04, v32
	ds_write2_b32 v0, v28, v28 offset1:1
	v_add_u32_e32 v0, 0xa0c, v32
	ds_write2_b32 v0, v28, v28 offset1:1
	v_add_u32_e32 v0, 0xa14, v32
	s_lshl_b32 s33, s4, 1
	ds_write2_b32 v0, v28, v28 offset1:1
	v_add_u32_e32 v0, 0x800, v32
	v_cmp_lt_u32_e64 s[0:1], 1, v175
	v_cmp_gt_u32_e32 vcc, 2, v175
	v_lshlrev_b32_e32 v190, 9, v175
	v_lshlrev_b32_e32 v192, 2, v173
	ds_write2_b32 v0, v28, v28 offset0:128 offset1:135
	s_and_saveexec_b64 s[8:9], vcc
	s_cbranch_execz .LBB31_17
; %bb.3:
	v_or_b32_e32 v0, s33, v175
	v_cmp_le_i32_e32 vcc, s34, v0
	v_lshl_add_u32 v0, v173, 3, v190
	v_sub_u32_e32 v1, 0, v192
	v_add_u32_e32 v6, v190, v173
	v_add_u32_e32 v7, v0, v1
	s_and_saveexec_b64 s[6:7], vcc
	s_xor_b64 s[6:7], exec, s[6:7]
	s_cbranch_execz .LBB31_7
; %bb.4:
	v_cmp_gt_u32_e32 vcc, 8, v173
	v_mov_b32_e32 v2, 0
	v_mad_u32_u24 v1, v173, 3, v6
	ds_write_b32 v7, v2
	ds_write_b32 v1, v2 offset:128
	s_and_saveexec_b64 s[30:31], vcc
; %bb.5:
	v_mov_b32_e32 v3, v2
	ds_write_b64 v0, v[2:3] offset:256
; %bb.6:
	s_or_b64 exec, exec, s[30:31]
                                        ; implicit-def: $vgpr7
                                        ; implicit-def: $vgpr6
.LBB31_7:
	s_andn2_saveexec_b64 s[6:7], s[6:7]
	s_cbranch_execz .LBB31_17
; %bb.8:
	s_load_dwordx4 s[52:55], s[2:3], 0x70
	v_lshlrev_b32_e32 v4, 2, v192
	v_mov_b32_e32 v5, 0
	v_mbcnt_lo_u32_b32 v2, -1, 0
	s_waitcnt lgkmcnt(0)
	s_mul_i32 s6, s50, s54
	s_mul_i32 s29, s52, s33
	;; [unrolled: 1-line block ×3, first 2 shown]
	s_add_i32 s6, s6, s29
	s_add_i32 s6, s6, s7
	s_ashr_i32 s7, s6, 31
	v_mul_lo_u32 v0, s52, v175
	s_add_u32 s6, s12, s6
	v_ashrrev_i32_e32 v1, 31, v0
	s_addc_u32 s7, s13, s7
	v_lshl_add_u64 v[0:1], s[6:7], 0, v[0:1]
	v_lshl_add_u64 v[0:1], v[0:1], 0, v[4:5]
	global_load_dwordx4 v[16:19], v[0:1], off
	v_mbcnt_hi_u32_b32 v4, -1, v2
	v_and_b32_e32 v2, 0x60, v4
	v_xor_b32_e32 v3, 4, v4
	v_add_u32_e32 v11, 32, v2
	v_xor_b32_e32 v8, 2, v4
	v_cmp_lt_i32_e32 vcc, v3, v11
	v_xor_b32_e32 v10, 1, v4
	s_mov_b32 s12, 0x42fe0000
	v_cndmask_b32_e32 v2, v4, v3, vcc
	v_cmp_lt_i32_e32 vcc, v8, v11
	v_lshlrev_b32_e32 v9, 2, v2
	s_mov_b32 s29, s28
	v_cndmask_b32_e32 v3, v4, v8, vcc
	v_lshlrev_b32_e32 v8, 2, v3
	v_cmp_lt_i32_e32 vcc, v10, v11
	s_waitcnt vmcnt(0)
	v_mov_b32_e32 v2, v19
	v_mov_b32_e32 v3, v17
	v_mul_f32_e32 v14, s28, v16
	v_pk_mul_f32 v[2:3], s[40:41], v[2:3] op_sel_hi:[0,1]
	v_mul_f32_e32 v13, s28, v18
	v_max_f32_e64 v12, |v14|, |v3|
	v_max3_f32 v12, v12, |v13|, |v2|
	ds_bpermute_b32 v15, v9, v12
	v_fma_f32 v16, s28, v16, v3
	v_fmac_f32_e32 v16, s28, v18
	v_add_f32_e32 v16, v16, v2
	ds_bpermute_b32 v17, v9, v16
	s_waitcnt lgkmcnt(1)
	v_max_f32_e32 v15, v15, v15
	v_max_f32_e32 v12, v12, v15
	ds_bpermute_b32 v15, v8, v12
	v_cndmask_b32_e32 v4, v4, v10, vcc
	v_lshlrev_b32_e32 v10, 2, v4
	s_waitcnt lgkmcnt(1)
	v_add_f32_e32 v4, v16, v17
	ds_bpermute_b32 v11, v8, v4
	s_waitcnt lgkmcnt(1)
	v_max_f32_e32 v15, v15, v15
	v_max_f32_e32 v12, v12, v15
	ds_bpermute_b32 v15, v10, v12
	s_waitcnt lgkmcnt(1)
	v_add_f32_e32 v11, v4, v11
	s_waitcnt lgkmcnt(0)
	v_max_f32_e32 v4, v15, v15
	v_max_f32_e32 v4, v12, v4
	v_div_scale_f32 v15, s[6:7], s12, s12, v4
	v_rcp_f32_e32 v16, v15
	v_div_scale_f32 v17, vcc, v4, s12, v4
	ds_bpermute_b32 v12, v10, v11
	v_fma_f32 v18, -v15, v16, 1.0
	v_fmac_f32_e32 v16, v18, v16
	v_mul_f32_e32 v18, v17, v16
	v_fma_f32 v19, -v15, v18, v17
	v_fmac_f32_e32 v18, v19, v16
	v_fma_f32 v15, -v15, v18, v17
	v_div_fmas_f32 v15, v15, v16, v18
	v_div_fixup_f32 v4, v15, s12, v4
	v_cmp_neq_f32_e32 vcc, 0, v4
	s_and_saveexec_b64 s[6:7], vcc
	s_cbranch_execz .LBB31_10
; %bb.9:
	v_div_scale_f32 v5, s[12:13], v4, v4, v14
	v_rcp_f32_e32 v15, v5
	v_div_scale_f32 v16, vcc, v14, v4, v14
	s_brev_b32 s30, -2
	v_fma_f32 v17, -v5, v15, 1.0
	v_fmac_f32_e32 v15, v17, v15
	v_mul_f32_e32 v17, v16, v15
	v_fma_f32 v18, -v5, v17, v16
	v_fmac_f32_e32 v17, v18, v15
	v_fma_f32 v5, -v5, v17, v16
	v_div_fmas_f32 v5, v5, v15, v17
	v_div_fixup_f32 v5, v5, v4, v14
	v_trunc_f32_e32 v14, v5
	v_sub_f32_e32 v15, v5, v14
	v_cmp_ge_f32_e64 s[12:13], |v15|, 0.5
	s_nop 1
	v_cndmask_b32_e64 v15, 0, 1.0, s[12:13]
	v_div_scale_f32 v16, s[12:13], v4, v4, v2
	v_rcp_f32_e32 v17, v16
	v_bfi_b32 v5, s30, v15, v5
	v_add_f32_e32 v5, v14, v5
	v_cvt_i32_f32_e32 v5, v5
	v_fma_f32 v14, -v16, v17, 1.0
	v_fmac_f32_e32 v17, v14, v17
	v_div_scale_f32 v14, vcc, v2, v4, v2
	v_mul_f32_e32 v15, v14, v17
	v_fma_f32 v18, -v16, v15, v14
	v_fmac_f32_e32 v15, v18, v17
	v_div_scale_f32 v18, s[12:13], v4, v4, v3
	v_rcp_f32_e32 v19, v18
	v_fma_f32 v14, -v16, v15, v14
	v_div_fmas_f32 v14, v14, v17, v15
	v_div_fixup_f32 v2, v14, v4, v2
	v_fma_f32 v15, -v18, v19, 1.0
	v_fmac_f32_e32 v19, v15, v19
	v_div_scale_f32 v15, vcc, v3, v4, v3
	v_mul_f32_e32 v16, v15, v19
	v_fma_f32 v17, -v18, v16, v15
	v_fmac_f32_e32 v16, v17, v19
	v_div_scale_f32 v17, s[12:13], v4, v4, v13
	v_rcp_f32_e32 v20, v17
	v_fma_f32 v15, -v18, v16, v15
	v_div_fmas_f32 v15, v15, v19, v16
	v_div_fixup_f32 v3, v15, v4, v3
	v_fma_f32 v16, -v17, v20, 1.0
	v_fmac_f32_e32 v20, v16, v20
	v_div_scale_f32 v16, vcc, v13, v4, v13
	v_mul_f32_e32 v18, v16, v20
	v_fma_f32 v19, -v17, v18, v16
	v_fmac_f32_e32 v18, v19, v20
	v_fma_f32 v16, -v17, v18, v16
	v_div_fmas_f32 v16, v16, v20, v18
	v_div_fixup_f32 v13, v16, v4, v13
	v_trunc_f32_e32 v16, v13
	v_sub_f32_e32 v17, v13, v16
	v_trunc_f32_e32 v14, v3
	v_cmp_ge_f32_e64 s[12:13], |v17|, 0.5
	v_sub_f32_e32 v15, v3, v14
	v_and_b32_e32 v5, 0xff, v5
	v_cndmask_b32_e64 v17, 0, 1.0, s[12:13]
	v_cmp_ge_f32_e64 s[12:13], |v15|, 0.5
	v_bfi_b32 v13, s30, v17, v13
	v_add_f32_e32 v13, v16, v13
	v_cndmask_b32_e64 v15, 0, 1.0, s[12:13]
	v_bfi_b32 v3, s30, v15, v3
	v_add_f32_e32 v3, v14, v3
	v_trunc_f32_e32 v14, v2
	v_sub_f32_e32 v15, v2, v14
	v_cmp_ge_f32_e64 s[12:13], |v15|, 0.5
	v_cvt_i32_f32_e32 v13, v13
	v_cvt_i32_f32_e32 v3, v3
	v_cndmask_b32_e64 v15, 0, 1.0, s[12:13]
	v_bfi_b32 v2, s30, v15, v2
	v_add_f32_e32 v2, v14, v2
	v_cvt_i32_f32_e32 v2, v2
	v_and_b32_e32 v13, 0xff, v13
	v_lshlrev_b32_e32 v13, 16, v13
	v_mov_b32_e32 v14, 8
	v_lshlrev_b32_sdwa v3, v14, v3 dst_sel:DWORD dst_unused:UNUSED_PAD src0_sel:DWORD src1_sel:BYTE_0
	v_lshl_or_b32 v2, v2, 24, v13
	v_or3_b32 v5, v2, v3, v5
.LBB31_10:
	s_or_b64 exec, exec, s[6:7]
	v_and_b32_e32 v2, 7, v173
	v_cmp_eq_u32_e64 s[6:7], 0, v2
	ds_write_b32 v7, v5
	s_and_saveexec_b64 s[12:13], s[6:7]
	s_cbranch_execz .LBB31_12
; %bb.11:
	s_waitcnt lgkmcnt(1)
	v_add_f32_e32 v5, v11, v12
	ds_write_b64 v6, v[4:5] offset:256
.LBB31_12:
	s_or_b64 exec, exec, s[12:13]
	s_waitcnt lgkmcnt(1)
	global_load_dwordx4 v[12:15], v[0:1], off offset:512
	s_waitcnt vmcnt(0)
	v_mov_b32_e32 v0, v15
	v_mov_b32_e32 v1, v13
	v_mul_f32_e32 v11, s28, v12
	v_pk_mul_f32 v[0:1], s[28:29], v[0:1]
	v_mul_f32_e32 v5, s28, v14
	v_max_f32_e64 v2, |v11|, |v1|
	v_max3_f32 v2, v2, |v5|, |v0|
	ds_bpermute_b32 v3, v9, v2
	v_fma_f32 v4, s28, v12, v1
	v_fmac_f32_e32 v4, s28, v14
	v_add_f32_e32 v4, v4, v0
	ds_bpermute_b32 v9, v9, v4
	s_waitcnt lgkmcnt(1)
	v_max_f32_e32 v3, v3, v3
	v_max_f32_e32 v2, v2, v3
	ds_bpermute_b32 v3, v8, v2
	s_mov_b32 s28, 0x42fe0000
	s_waitcnt lgkmcnt(1)
	v_add_f32_e32 v4, v4, v9
	ds_bpermute_b32 v8, v8, v4
	s_waitcnt lgkmcnt(1)
	v_max_f32_e32 v3, v3, v3
	v_max_f32_e32 v2, v2, v3
	ds_bpermute_b32 v9, v10, v2
	s_waitcnt lgkmcnt(1)
	v_add_f32_e32 v3, v4, v8
	s_waitcnt lgkmcnt(0)
	v_max_f32_e32 v4, v9, v9
	v_max_f32_e32 v2, v2, v4
	v_div_scale_f32 v8, s[12:13], s28, s28, v2
	v_rcp_f32_e32 v9, v8
	ds_bpermute_b32 v4, v10, v3
	v_div_scale_f32 v10, vcc, v2, s28, v2
	v_fma_f32 v12, -v8, v9, 1.0
	v_fmac_f32_e32 v9, v12, v9
	v_mul_f32_e32 v12, v10, v9
	v_fma_f32 v13, -v8, v12, v10
	v_fmac_f32_e32 v12, v13, v9
	v_fma_f32 v8, -v8, v12, v10
	v_div_fmas_f32 v8, v8, v9, v12
	v_div_fixup_f32 v2, v8, s28, v2
	v_cmp_neq_f32_e32 vcc, 0, v2
	v_mov_b32_e32 v8, 0
	s_and_saveexec_b64 s[12:13], vcc
	s_cbranch_execz .LBB31_14
; %bb.13:
	v_div_scale_f32 v8, s[28:29], v2, v2, v11
	v_rcp_f32_e32 v9, v8
	v_div_scale_f32 v10, vcc, v11, v2, v11
	s_brev_b32 s30, -2
	v_fma_f32 v12, -v8, v9, 1.0
	v_fmac_f32_e32 v9, v12, v9
	v_mul_f32_e32 v12, v10, v9
	v_fma_f32 v13, -v8, v12, v10
	v_fmac_f32_e32 v12, v13, v9
	v_fma_f32 v8, -v8, v12, v10
	v_div_fmas_f32 v8, v8, v9, v12
	v_div_fixup_f32 v8, v8, v2, v11
	v_trunc_f32_e32 v9, v8
	v_sub_f32_e32 v10, v8, v9
	v_cmp_ge_f32_e64 s[28:29], |v10|, 0.5
	s_nop 1
	v_cndmask_b32_e64 v10, 0, 1.0, s[28:29]
	v_div_scale_f32 v11, s[28:29], v2, v2, v0
	v_rcp_f32_e32 v12, v11
	v_bfi_b32 v8, s30, v10, v8
	v_add_f32_e32 v8, v9, v8
	v_cvt_i32_f32_e32 v8, v8
	v_fma_f32 v9, -v11, v12, 1.0
	v_fmac_f32_e32 v12, v9, v12
	v_div_scale_f32 v9, vcc, v0, v2, v0
	v_mul_f32_e32 v10, v9, v12
	v_fma_f32 v13, -v11, v10, v9
	v_fmac_f32_e32 v10, v13, v12
	v_div_scale_f32 v13, s[28:29], v2, v2, v1
	v_rcp_f32_e32 v14, v13
	v_fma_f32 v9, -v11, v10, v9
	v_div_fmas_f32 v9, v9, v12, v10
	v_div_fixup_f32 v0, v9, v2, v0
	v_fma_f32 v10, -v13, v14, 1.0
	v_fmac_f32_e32 v14, v10, v14
	v_div_scale_f32 v10, vcc, v1, v2, v1
	v_mul_f32_e32 v11, v10, v14
	v_fma_f32 v12, -v13, v11, v10
	v_fmac_f32_e32 v11, v12, v14
	v_div_scale_f32 v12, s[28:29], v2, v2, v5
	v_rcp_f32_e32 v15, v12
	v_fma_f32 v10, -v13, v11, v10
	v_div_fmas_f32 v10, v10, v14, v11
	v_div_fixup_f32 v1, v10, v2, v1
	v_fma_f32 v11, -v12, v15, 1.0
	v_fmac_f32_e32 v15, v11, v15
	v_div_scale_f32 v11, vcc, v5, v2, v5
	v_mul_f32_e32 v13, v11, v15
	v_fma_f32 v14, -v12, v13, v11
	v_fmac_f32_e32 v13, v14, v15
	v_fma_f32 v11, -v12, v13, v11
	v_div_fmas_f32 v11, v11, v15, v13
	v_div_fixup_f32 v5, v11, v2, v5
	v_trunc_f32_e32 v11, v5
	v_sub_f32_e32 v12, v5, v11
	v_trunc_f32_e32 v9, v1
	v_cmp_ge_f32_e64 s[28:29], |v12|, 0.5
	v_sub_f32_e32 v10, v1, v9
	s_nop 0
	v_cndmask_b32_e64 v12, 0, 1.0, s[28:29]
	v_cmp_ge_f32_e64 s[28:29], |v10|, 0.5
	v_bfi_b32 v5, s30, v12, v5
	v_add_f32_e32 v5, v11, v5
	v_cndmask_b32_e64 v10, 0, 1.0, s[28:29]
	v_bfi_b32 v1, s30, v10, v1
	v_add_f32_e32 v1, v9, v1
	v_trunc_f32_e32 v9, v0
	v_sub_f32_e32 v10, v0, v9
	v_cmp_ge_f32_e64 s[28:29], |v10|, 0.5
	v_cvt_i32_f32_e32 v5, v5
	v_cvt_i32_f32_e32 v1, v1
	v_cndmask_b32_e64 v10, 0, 1.0, s[28:29]
	v_bfi_b32 v0, s30, v10, v0
	v_add_f32_e32 v0, v9, v0
	v_cvt_i32_f32_e32 v0, v0
	v_and_b32_e32 v5, 0xff, v5
	v_lshlrev_b32_e32 v5, 16, v5
	v_mov_b32_e32 v9, 8
	v_lshlrev_b32_sdwa v1, v9, v1 dst_sel:DWORD dst_unused:UNUSED_PAD src0_sel:DWORD src1_sel:BYTE_0
	v_lshl_or_b32 v0, v0, 24, v5
	v_and_b32_e32 v5, 0xff, v8
	v_or3_b32 v8, v0, v1, v5
.LBB31_14:
	s_or_b64 exec, exec, s[12:13]
	ds_write_b32 v7, v8 offset:128
	s_and_saveexec_b64 s[12:13], s[6:7]
	s_cbranch_execz .LBB31_16
; %bb.15:
	s_waitcnt lgkmcnt(1)
	v_add_f32_e32 v3, v3, v4
	ds_write_b64 v6, v[2:3] offset:288
.LBB31_16:
	s_or_b64 exec, exec, s[12:13]
.LBB31_17:
	s_or_b64 exec, exec, s[8:9]
	v_and_b32_e32 v33, 3, v173
	v_lshlrev_b32_e32 v58, 2, v33
	s_waitcnt lgkmcnt(0)
	s_barrier
	ds_read2_b32 v[60:61], v58 offset1:4
	ds_read2_b32 v[62:63], v58 offset0:8 offset1:12
	ds_read_b128 v[0:3], v28 offset:256
	ds_read_b128 v[4:7], v28 offset:272
	ds_read_b128 v[8:11], v28 offset:288
	ds_read_b128 v[12:15], v28 offset:304
	ds_read2_b32 v[64:65], v58 offset0:16 offset1:20
	ds_read2_b32 v[66:67], v58 offset0:24 offset1:28
	;; [unrolled: 1-line block ×9, first 2 shown]
	ds_read_b128 v[16:19], v28 offset:768
	ds_read_b128 v[20:23], v28 offset:784
	ds_read2_b32 v[82:83], v58 offset0:152 offset1:156
	ds_read2_b32 v[84:85], v58 offset0:160 offset1:164
	;; [unrolled: 1-line block ×4, first 2 shown]
	ds_read_b128 v[24:27], v28 offset:800
	ds_read_b128 v[28:31], v28 offset:816
	ds_read2_b32 v[90:91], v58 offset0:184 offset1:188
	s_cmp_eq_u64 s[22:23], 0
	s_mov_b32 s37, s48
	s_waitcnt lgkmcnt(0)
	s_barrier
	s_cbranch_scc1 .LBB31_19
; %bb.18:
	s_load_dword s6, s[2:3], 0xd0
	s_mov_b32 s7, 0
	s_waitcnt lgkmcnt(0)
	s_mul_i32 s6, s6, s50
	s_add_i32 s6, s6, s4
	s_lshl_b64 s[6:7], s[6:7], 2
	s_add_u32 s6, s22, s6
	s_addc_u32 s7, s23, s7
	s_load_dword s37, s[6:7], 0x0
.LBB31_19:
	v_add_u32_e32 v195, 0xa00, v32
	v_lshlrev_b32_e32 v32, 5, v175
	v_add_u32_e32 v191, v32, v173
	s_lshl_b32 s22, s5, 7
	s_mov_b32 s41, 0
	s_waitcnt lgkmcnt(0)
	s_cmp_ge_i32 s22, s37
	v_mbcnt_lo_u32_b32 v196, -1, 0
	v_lshlrev_b32_e32 v193, 1, v191
	s_cbranch_scc1 .LBB31_71
; %bb.20:
	s_load_dwordx2 s[12:13], s[2:3], 0x8c
	s_load_dwordx4 s[28:31], s[2:3], 0x98
	s_sub_i32 s4, 0, s42
	s_sub_i32 s6, 0, s10
	s_mul_i32 s4, s4, s45
	s_mul_i32 s6, s6, s44
	s_mul_hi_u32 s4, s45, s4
	s_mul_hi_u32 s6, s44, s6
	s_abs_i32 s8, s36
	s_add_i32 s45, s45, s4
	s_abs_i32 s4, s50
	s_add_i32 s44, s44, s6
	s_ashr_i32 s40, s43, 31
	s_ashr_i32 s43, s50, 31
	s_mul_hi_u32 s9, s8, s45
	s_mul_hi_u32 s23, s4, s44
	s_waitcnt lgkmcnt(0)
	s_mul_hi_u32 s44, s28, s50
	s_mul_i32 s45, s28, s43
	s_ashr_i32 s38, s36, 31
	s_add_i32 s44, s44, s45
	s_mul_i32 s29, s29, s50
	s_add_i32 s44, s44, s29
	s_xor_b32 s29, s38, s40
	s_mul_i32 s38, s9, s42
	s_sub_i32 s8, s8, s38
	s_add_i32 s38, s9, 1
	s_sub_i32 s40, s8, s42
	s_cmp_ge_u32 s8, s42
	s_cselect_b32 s9, s38, s9
	s_cselect_b32 s8, s40, s8
	s_add_i32 s38, s9, 1
	s_cmp_ge_u32 s8, s42
	s_cselect_b32 s8, s38, s9
	s_xor_b32 s8, s8, s29
	s_load_dwordx2 s[6:7], s[2:3], 0xa8
	s_sub_i32 s29, s8, s29
	s_mul_i32 s8, s29, s13
	s_mul_i32 s28, s28, s50
	s_ashr_i32 s9, s8, 31
	s_add_u32 s13, s14, s28
	s_addc_u32 s14, s15, s44
	s_add_u32 s13, s13, s8
	s_waitcnt lgkmcnt(0)
	s_mul_hi_u32 s28, s6, s50
	s_mul_i32 s38, s6, s43
	s_addc_u32 s14, s14, s9
	s_add_i32 s28, s28, s38
	s_mul_i32 s7, s7, s50
	s_mul_i32 s29, s29, s31
	s_add_i32 s28, s28, s7
	s_mul_i32 s6, s6, s50
	s_ashr_i32 s7, s29, 31
	s_add_u32 s6, s16, s6
	s_addc_u32 s16, s17, s28
	s_add_u32 s17, s6, s29
	s_mul_i32 s23, s23, s10
	s_addc_u32 s16, s16, s7
	s_sub_i32 s4, s4, s23
	s_sub_i32 s6, s4, s10
	s_cmp_ge_u32 s4, s10
	s_cselect_b32 s4, s6, s4
	s_sub_i32 s6, s4, s10
	s_cmp_ge_u32 s4, s10
	s_load_dwordx2 s[8:9], s[2:3], 0xc8
	s_load_dword s15, s[2:3], 0xd4
	s_cselect_b32 s4, s6, s4
	s_xor_b32 s4, s4, s43
	v_mul_lo_u32 v104, v32, s30
	s_sub_i32 s4, s4, s43
	v_add_u32_e32 v110, s30, v104
	s_ashr_i32 s6, s4, 31
	v_add_u32_e32 v112, s30, v110
	s_waitcnt lgkmcnt(0)
	s_mul_i32 s6, s8, s6
	s_mul_hi_u32 s7, s8, s4
	v_add_u32_e32 v114, s30, v112
	s_add_i32 s6, s7, s6
	s_mul_i32 s7, s9, s4
	v_add_u32_e32 v116, s30, v114
	s_add_i32 s6, s6, s7
	s_mul_i32 s4, s8, s4
	v_add_u32_e32 v118, s30, v116
	s_add_u32 s4, s18, s4
	s_mul_i32 s7, s11, s33
	v_add_u32_e32 v120, s30, v118
	s_addc_u32 s6, s19, s6
	s_ashr_i32 s8, s7, 31
	v_add_u32_e32 v122, s30, v120
	s_add_u32 s4, s4, s7
	s_mov_b32 s23, s41
	v_add_u32_e32 v124, s30, v122
	s_addc_u32 s8, s6, s8
	s_lshl_b64 s[6:7], s[22:23], 1
	v_add_u32_e32 v126, s30, v124
	s_add_u32 s28, s4, s6
	v_add_u32_e32 v128, s30, v126
	s_addc_u32 s29, s8, s7
	s_mul_i32 s4, s30, s22
	v_add_u32_e32 v130, s30, v128
	s_add_u32 s42, s17, s4
	v_add_u32_e32 v132, s30, v130
	s_addc_u32 s43, s16, 0
	s_mul_i32 s4, s12, s22
	v_and_b32_e32 v34, 0x7c, v173
	v_add_u32_e32 v134, s30, v132
	s_add_u32 s44, s13, s4
	v_add_u32_e32 v92, v32, v34
	v_mbcnt_hi_u32_b32 v34, -1, v196
	v_add_u32_e32 v136, s30, v134
	s_addc_u32 s45, s14, 0
	v_and_b32_e32 v35, 0x7c, v34
	v_add_u32_e32 v138, s30, v136
	v_add_u32_e32 v35, 4, v35
	v_xor_b32_e32 v36, 2, v34
	s_cmp_lg_u64 s[18:19], 0
	v_add_u32_e32 v140, s30, v138
	v_cmp_lt_i32_e32 vcc, v36, v35
	s_cselect_b64 s[6:7], -1, 0
	s_lshl_b32 s40, s15, 7
	v_add_u32_e32 v142, s30, v140
	v_cndmask_b32_e32 v36, v34, v36, vcc
	s_cmp_lt_i32 s33, s34
	v_add_u32_e32 v144, s30, v142
	v_lshlrev_b32_e32 v197, 2, v36
	v_xor_b32_e32 v36, 1, v34
	s_cselect_b64 s[8:9], -1, 0
	v_add_u32_e32 v146, s30, v144
	v_cmp_lt_i32_e32 vcc, v36, v35
	s_and_b64 s[18:19], s[6:7], s[8:9]
	s_or_b32 s8, s33, 1
	v_add_u32_e32 v148, s30, v146
	v_cndmask_b32_e32 v35, v34, v36, vcc
	s_cmp_lt_i32 s8, s34
	v_add_u32_e32 v150, s30, v148
	v_lshlrev_b32_e32 v198, 2, v35
	v_and_b32_e32 v35, 0x60, v34
	s_cselect_b64 s[8:9], -1, 0
	v_add_u32_e32 v152, s30, v150
	v_add_u32_e32 v35, 32, v35
	v_cmp_eq_u32_e64 s[16:17], 0, v33
	s_and_b64 s[46:47], s[6:7], s[8:9]
	v_cmp_eq_u32_e64 s[6:7], 1, v33
	v_cmp_eq_u32_e64 s[8:9], 2, v33
	;; [unrolled: 1-line block ×3, first 2 shown]
	v_xor_b32_e32 v33, 4, v34
	v_add_u32_e32 v154, s30, v152
	v_cmp_lt_i32_e32 vcc, v33, v35
	v_add_u32_e32 v156, s30, v154
	v_add_u32_e32 v158, s30, v156
	v_cndmask_b32_e32 v33, v34, v33, vcc
	v_lshlrev_b32_e32 v199, 2, v33
	v_xor_b32_e32 v33, 8, v34
	v_add_u32_e32 v160, s30, v158
	v_cmp_lt_i32_e32 vcc, v33, v35
	v_add_u32_e32 v162, s30, v160
	v_mul_lo_u32 v94, v92, s12
	v_cndmask_b32_e32 v33, v34, v33, vcc
	v_add_u32_e32 v164, s30, v162
	v_add_u32_e32 v98, s12, v94
	v_lshlrev_b32_e32 v200, 2, v33
	v_xor_b32_e32 v33, 16, v34
	v_add_u32_e32 v166, s30, v164
	v_mov_b32_e32 v59, 0
	v_add_u32_e32 v100, s12, v98
	v_cmp_lt_i32_e32 vcc, v33, v35
	v_add_u32_e32 v168, s30, v166
	v_mov_b32_e32 v93, v59
	v_add_u32_e32 v96, s48, v92
	v_add_u32_e32 v102, s12, v100
	v_cndmask_b32_e32 v33, v34, v33, vcc
	v_lshlrev_b32_e32 v202, 1, v32
	v_add_u32_e32 v32, 0x80, v192
	v_add_u32_e32 v170, s30, v168
	s_ashr_i32 s49, s48, 31
	v_and_b32_e32 v204, 28, v192
	s_mul_i32 s4, s40, s12
	s_mul_i32 s23, s40, s30
	v_ashrrev_i32_e32 v95, 31, v94
	v_ashrrev_i32_e32 v97, 31, v96
	;; [unrolled: 1-line block ×5, first 2 shown]
	v_lshlrev_b32_e32 v201, 2, v33
	v_ashrrev_i32_e32 v105, 31, v104
	v_and_b32_e32 v106, 12, v192
	v_mov_b32_e32 v107, v59
	v_and_b32_e32 v108, 12, v32
	v_mov_b32_e32 v109, v59
	v_ashrrev_i32_e32 v111, 31, v110
	v_ashrrev_i32_e32 v113, 31, v112
	;; [unrolled: 1-line block ×31, first 2 shown]
	s_movk_i32 s38, 0x1000
	s_mov_b32 s51, 0x3f200000
	s_mov_b32 s52, 0x3fb8aa3b
	;; [unrolled: 1-line block ×4, first 2 shown]
	s_brev_b32 s55, -2
	s_mov_b32 s56, 0x10001
	v_mov_b32_e32 v56, v59
	v_mov_b32_e32 v57, v59
	v_mov_b32_e32 v178, v59
	v_mov_b32_e32 v179, v59
	v_or_b32_e32 v203, 16, v58
	v_and_b32_e32 v205, 4, v173
	v_or_b32_e32 v206, 1, v204
	v_or_b32_e32 v207, 2, v204
	;; [unrolled: 1-line block ×3, first 2 shown]
	v_lshrrev_b32_e32 v172, 5, v32
	v_mov_b32_e32 v37, 0xfeffffff
	v_mov_b32_e32 v209, 0x3ca908c9
	;; [unrolled: 1-line block ×5, first 2 shown]
	v_bfe_u32 v174, v173, 3, 27
	v_lshl_add_u64 v[176:177], s[48:49], 0, v[92:93]
                                        ; implicit-def: $vgpr33
                                        ; implicit-def: $vgpr33
	;; [unrolled: 1-line block ×3, first 2 shown]
.LBB31_21:                              ; =>This Inner Loop Header: Depth=1
	v_lshl_add_u64 v[32:33], s[44:45], 0, v[94:95]
	global_load_dwordx2 v[34:35], v[32:33], off
	global_load_dwordx2 v[44:45], v[32:33], off offset:24
	global_load_dwordx2 v[46:47], v[32:33], off offset:48
	v_lshl_add_u64 v[38:39], v[32:33], 0, v[58:59]
	global_load_dword v40, v[38:39], off offset:8
	global_load_dword v48, v[38:39], off offset:32
	;; [unrolled: 1-line block ×3, first 2 shown]
	global_load_dwordx2 v[52:53], v[32:33], off offset:72
	global_load_dwordx2 v[180:181], v[32:33], off offset:96
	;; [unrolled: 1-line block ×3, first 2 shown]
	global_load_dword v51, v[38:39], off offset:80
	global_load_dword v54, v[38:39], off offset:104
	;; [unrolled: 1-line block ×4, first 2 shown]
	s_nop 0
	global_load_dword v38, v[38:39], off offset:176
	s_waitcnt vmcnt(9)
	v_and_b32_e32 v213, 0xf0f0f0f, v48
	s_waitcnt vmcnt(8)
	v_and_b32_e32 v221, 0xf0f0f0f, v49
	v_lshrrev_b32_e32 v49, 4, v49
	v_and_b32_e32 v225, 0xf0f0f0f, v49
	v_lshrrev_b32_e32 v48, 4, v48
	v_ashrrev_i32_e32 v55, v203, v35
	v_ashrrev_i32_e32 v50, v58, v35
	v_cvt_f32_f16_e32 v43, v34
	v_cvt_f32_f16_sdwa v42, v34 dst_sel:DWORD dst_unused:UNUSED_PAD src0_sel:WORD_1
	v_cvt_f32_f16_e32 v35, v46
	v_cvt_f32_f16_sdwa v34, v46 dst_sel:DWORD dst_unused:UNUSED_PAD src0_sel:WORD_1
	v_and_b32_e32 v46, 0xf0f0f0f, v40
	v_lshrrev_b32_e32 v40, 4, v40
	v_lshlrev_b32_e32 v188, 4, v55
	v_lshlrev_b32_e32 v189, 11, v55
	;; [unrolled: 1-line block ×4, first 2 shown]
	v_and_b32_e32 v40, 0xf0f0f0f, v40
	v_and_b32_e32 v212, 0x100000, v212
	;; [unrolled: 1-line block ×5, first 2 shown]
	v_or3_b32 v40, v55, v40, v212
	v_or3_b32 v55, v40, v188, v189
	global_load_dwordx2 v[188:189], v[32:33], off offset:144
	v_ashrrev_i32_e32 v93, v58, v45
	v_lshlrev_b32_e32 v215, 4, v93
	v_lshlrev_b32_e32 v216, 11, v93
	;; [unrolled: 1-line block ×4, first 2 shown]
	v_and_b32_e32 v217, 0x100000, v217
	v_and_b32_e32 v93, 0x10000000, v93
	v_or3_b32 v49, v93, v213, v217
	global_load_dwordx2 v[212:213], v[32:33], off offset:168
	v_cvt_f32_f16_e32 v41, v44
	v_cvt_f32_f16_sdwa v39, v44 dst_sel:DWORD dst_unused:UNUSED_PAD src0_sel:WORD_1
	v_ashrrev_i32_e32 v44, v203, v45
	v_ashrrev_i32_e32 v45, v58, v47
	v_lshlrev_b32_e32 v182, 4, v50
	v_lshlrev_b32_e32 v183, 11, v50
	;; [unrolled: 1-line block ×12, first 2 shown]
	v_and_b32_e32 v187, 0x100000, v187
	v_and_b32_e32 v50, 0x10000000, v50
	v_and_b32_e32 v48, 0xf0f0f0f, v48
	v_and_b32_e32 v220, 0x100000, v220
	v_and_b32_e32 v44, 0x10000000, v44
	v_and_b32_e32 v224, 0x100000, v224
	v_and_b32_e32 v45, 0x10000000, v45
	v_and_b32_e32 v182, 16, v182
	v_and_b32_e32 v183, 0x1000, v183
	v_and_b32_e32 v215, 16, v215
	v_and_b32_e32 v216, 0x1000, v216
	v_and_b32_e32 v218, 16, v218
	v_and_b32_e32 v219, 0x1000, v219
	v_and_b32_e32 v222, 16, v222
	v_and_b32_e32 v223, 0x1000, v223
	v_or3_b32 v46, v50, v46, v187
	v_or3_b32 v44, v44, v48, v220
	;; [unrolled: 1-line block ×3, first 2 shown]
	v_ashrrev_i32_e32 v40, v203, v47
	v_or3_b32 v183, v46, v182, v183
	v_or3_b32 v50, v49, v215, v216
	;; [unrolled: 1-line block ×4, first 2 shown]
	v_lshlrev_b32_e32 v45, 4, v40
	v_lshlrev_b32_e32 v46, 11, v40
	;; [unrolled: 1-line block ×4, first 2 shown]
	v_and_b32_e32 v47, 0x100000, v47
	v_and_b32_e32 v40, 0x10000000, v40
	;; [unrolled: 1-line block ×4, first 2 shown]
	v_or3_b32 v40, v40, v225, v47
	v_or3_b32 v47, v40, v45, v46
	s_waitcnt vmcnt(9)
	v_ashrrev_i32_e32 v45, v58, v53
	v_lshlrev_b32_e32 v46, 4, v45
	v_lshlrev_b32_e32 v48, 11, v45
	v_lshlrev_b32_e32 v93, 18, v45
	v_lshlrev_b32_e32 v45, 25, v45
	s_waitcnt vmcnt(6)
	v_and_b32_e32 v40, 0xf0f0f0f, v51
	v_and_b32_e32 v93, 0x100000, v93
	v_and_b32_e32 v45, 0x10000000, v45
	v_and_b32_e32 v46, 16, v46
	v_and_b32_e32 v48, 0x1000, v48
	v_or3_b32 v40, v45, v40, v93
	v_or3_b32 v48, v40, v46, v48
	v_lshrrev_b32_e32 v40, 4, v51
	v_ashrrev_i32_e32 v51, v203, v53
	v_cvt_f32_f16_e32 v45, v52
	v_cvt_f32_f16_sdwa v46, v52 dst_sel:DWORD dst_unused:UNUSED_PAD src0_sel:WORD_1
	v_lshlrev_b32_e32 v52, 4, v51
	v_lshlrev_b32_e32 v53, 11, v51
	;; [unrolled: 1-line block ×4, first 2 shown]
	v_and_b32_e32 v40, 0xf0f0f0f, v40
	v_and_b32_e32 v93, 0x100000, v93
	;; [unrolled: 1-line block ×5, first 2 shown]
	v_or3_b32 v40, v51, v40, v93
	v_ashrrev_i32_e32 v32, v58, v181
	v_or3_b32 v51, v40, v52, v53
	v_lshlrev_b32_e32 v33, 4, v32
	v_lshlrev_b32_e32 v52, 11, v32
	v_lshlrev_b32_e32 v53, 18, v32
	v_lshlrev_b32_e32 v32, 25, v32
	s_waitcnt vmcnt(5)
	v_and_b32_e32 v40, 0xf0f0f0f, v54
	v_and_b32_e32 v53, 0x100000, v53
	;; [unrolled: 1-line block ×5, first 2 shown]
	v_or3_b32 v32, v32, v40, v53
	v_ashrrev_i32_e32 v53, v203, v181
	v_or3_b32 v52, v32, v33, v52
	v_cvt_f32_f16_e32 v32, v180
	v_cvt_f32_f16_sdwa v33, v180 dst_sel:DWORD dst_unused:UNUSED_PAD src0_sel:WORD_1
	v_lshrrev_b32_e32 v40, 4, v54
	v_lshlrev_b32_e32 v54, 4, v53
	v_lshlrev_b32_e32 v93, 11, v53
	v_lshlrev_b32_e32 v180, 18, v53
	v_lshlrev_b32_e32 v53, 25, v53
	v_and_b32_e32 v40, 0xf0f0f0f, v40
	v_and_b32_e32 v180, 0x100000, v180
	;; [unrolled: 1-line block ×5, first 2 shown]
	v_or3_b32 v40, v53, v40, v180
	v_ashrrev_i32_e32 v53, v58, v185
	v_or3_b32 v182, v40, v54, v93
	v_lshlrev_b32_e32 v54, 4, v53
	v_lshlrev_b32_e32 v93, 11, v53
	;; [unrolled: 1-line block ×4, first 2 shown]
	s_waitcnt vmcnt(4)
	v_and_b32_e32 v40, 0xf0f0f0f, v186
	v_and_b32_e32 v180, 0x100000, v180
	;; [unrolled: 1-line block ×5, first 2 shown]
	v_or3_b32 v40, v53, v40, v180
	v_ashrrev_i32_e32 v180, v203, v185
	v_or3_b32 v93, v40, v54, v93
	v_cvt_f32_f16_e32 v53, v184
	v_cvt_f32_f16_sdwa v54, v184 dst_sel:DWORD dst_unused:UNUSED_PAD src0_sel:WORD_1
	v_lshrrev_b32_e32 v40, 4, v186
	v_lshlrev_b32_e32 v181, 4, v180
	v_lshlrev_b32_e32 v184, 11, v180
	;; [unrolled: 1-line block ×4, first 2 shown]
	v_and_b32_e32 v40, 0xf0f0f0f, v40
	v_and_b32_e32 v185, 0x100000, v185
	;; [unrolled: 1-line block ×5, first 2 shown]
	v_or3_b32 v40, v180, v40, v185
	s_waitcnt vmcnt(1)
	v_ashrrev_i32_e32 v180, v58, v189
	v_or3_b32 v187, v40, v181, v184
	v_lshlrev_b32_e32 v181, 4, v180
	v_lshlrev_b32_e32 v184, 11, v180
	;; [unrolled: 1-line block ×4, first 2 shown]
	v_and_b32_e32 v40, 0xf0f0f0f, v214
	v_and_b32_e32 v185, 0x100000, v185
	;; [unrolled: 1-line block ×5, first 2 shown]
	v_or3_b32 v40, v180, v40, v185
	v_ashrrev_i32_e32 v185, v203, v189
	v_or3_b32 v184, v40, v181, v184
	v_cvt_f32_f16_e32 v180, v188
	v_cvt_f32_f16_sdwa v181, v188 dst_sel:DWORD dst_unused:UNUSED_PAD src0_sel:WORD_1
	v_lshrrev_b32_e32 v40, 4, v214
	v_lshlrev_b32_e32 v186, 4, v185
	v_lshlrev_b32_e32 v188, 11, v185
	;; [unrolled: 1-line block ×4, first 2 shown]
	v_and_b32_e32 v40, 0xf0f0f0f, v40
	v_and_b32_e32 v189, 0x100000, v189
	;; [unrolled: 1-line block ×5, first 2 shown]
	v_or3_b32 v40, v185, v40, v189
	s_waitcnt vmcnt(0)
	v_ashrrev_i32_e32 v185, v58, v213
	v_or3_b32 v189, v40, v186, v188
	v_lshlrev_b32_e32 v186, 4, v185
	v_lshlrev_b32_e32 v188, 11, v185
	;; [unrolled: 1-line block ×4, first 2 shown]
	v_and_b32_e32 v40, 0xf0f0f0f, v38
	v_and_b32_e32 v214, 0x100000, v214
	;; [unrolled: 1-line block ×5, first 2 shown]
	v_or3_b32 v40, v185, v40, v214
	v_or3_b32 v188, v40, v186, v188
	v_ashrrev_i32_e32 v40, v203, v213
	v_cvt_f32_f16_e32 v185, v212
	v_cvt_f32_f16_sdwa v186, v212 dst_sel:DWORD dst_unused:UNUSED_PAD src0_sel:WORD_1
	v_lshrrev_b32_e32 v38, 4, v38
	v_lshlrev_b32_e32 v212, 4, v40
	v_lshlrev_b32_e32 v213, 11, v40
	;; [unrolled: 1-line block ×4, first 2 shown]
	v_and_b32_e32 v38, 0xf0f0f0f, v38
	v_and_b32_e32 v214, 0x100000, v214
	;; [unrolled: 1-line block ×5, first 2 shown]
	v_or3_b32 v38, v40, v38, v214
	v_or3_b32 v212, v38, v212, v213
	v_mov_b32_e32 v38, 0
	v_mov_b32_e32 v214, 0
	v_dot4c_i32_i8_e32 v38, v183, v60
	v_dot4c_i32_i8_e32 v214, v55, v61
	v_mul_f32_e32 v213, v1, v42
	v_mul_f32_e32 v40, v0, v43
	v_cvt_f32_i32_e32 v38, v38
	v_cvt_f32_i32_e32 v214, v214
	v_mul_f32_e32 v213, 0x3e000000, v213
	v_mov_b32_e32 v215, 0
	v_fma_f32 v38, v40, v38, v213
	v_fmac_f32_e32 v213, v40, v214
	v_mov_b32_e32 v40, 0
	v_dot4c_i32_i8_e32 v40, v50, v62
	v_dot4c_i32_i8_e32 v215, v49, v63
	v_add_f32_e32 v38, 0, v38
	v_mul_f32_e32 v214, v3, v39
	v_cvt_f32_i32_e32 v40, v40
	v_cvt_f32_i32_e32 v215, v215
	v_add_f32_e32 v38, v213, v38
	v_mul_f32_e32 v213, v2, v41
	v_mul_f32_e32 v214, 0x3e000000, v214
	v_fma_f32 v40, v213, v40, v214
	v_add_f32_e32 v38, v38, v40
	v_mov_b32_e32 v40, 0
	v_fmac_f32_e32 v214, v213, v215
	v_dot4c_i32_i8_e32 v40, v44, v64
	v_mov_b32_e32 v215, 0
	v_dot4c_i32_i8_e32 v215, v47, v65
	v_add_f32_e32 v38, v214, v38
	v_cvt_f32_i32_e32 v40, v40
	v_mul_f32_e32 v214, v5, v34
	v_cvt_f32_i32_e32 v215, v215
	v_mul_f32_e32 v213, v4, v35
	v_mul_f32_e32 v214, 0x3e000000, v214
	v_fma_f32 v40, v213, v40, v214
	v_add_f32_e32 v38, v38, v40
	v_fmac_f32_e32 v214, v213, v215
	v_add_f32_e32 v213, v214, v38
	v_mov_b32_e32 v38, 0
	v_mov_b32_e32 v40, 0
	v_dot4c_i32_i8_e32 v38, v48, v66
	v_dot4c_i32_i8_e32 v40, v51, v67
	s_nop 1
	v_cvt_f32_i32_e32 v215, v38
	v_cvt_f32_i32_e32 v214, v40
	v_mul_f32_e32 v40, v7, v46
	v_mul_f32_e32 v38, v6, v45
	v_mul_f32_e32 v40, 0x3e000000, v40
	v_pk_fma_f32 v[214:215], v[38:39], v[214:215], v[40:41] op_sel_hi:[0,1,0]
	v_add_f32_e32 v38, v213, v215
	v_add_f32_e32 v213, v214, v38
	v_mov_b32_e32 v38, 0
	v_mov_b32_e32 v40, 0
	v_dot4c_i32_i8_e32 v38, v52, v68
	v_dot4c_i32_i8_e32 v40, v182, v69
	s_nop 1
	v_cvt_f32_i32_e32 v215, v38
	v_cvt_f32_i32_e32 v214, v40
	v_mul_f32_e32 v40, v9, v33
	v_mul_f32_e32 v38, v8, v32
	v_mul_f32_e32 v40, 0x3e000000, v40
	v_pk_fma_f32 v[214:215], v[38:39], v[214:215], v[40:41] op_sel_hi:[0,1,0]
	v_add_f32_e32 v38, v213, v215
	v_add_f32_e32 v213, v214, v38
	v_mov_b32_e32 v38, 0
	v_mov_b32_e32 v40, 0
	v_dot4c_i32_i8_e32 v38, v93, v70
	v_dot4c_i32_i8_e32 v40, v187, v71
	s_nop 1
	v_cvt_f32_i32_e32 v215, v38
	v_cvt_f32_i32_e32 v214, v40
	v_mul_f32_e32 v40, v11, v54
	v_mul_f32_e32 v38, v10, v53
	v_mul_f32_e32 v40, 0x3e000000, v40
	v_pk_fma_f32 v[214:215], v[38:39], v[214:215], v[40:41] op_sel_hi:[0,1,0]
	v_add_f32_e32 v38, v213, v215
	v_add_f32_e32 v213, v214, v38
	v_mov_b32_e32 v38, 0
	v_mov_b32_e32 v40, 0
	v_dot4c_i32_i8_e32 v38, v184, v72
	v_dot4c_i32_i8_e32 v40, v189, v73
	s_nop 1
	v_cvt_f32_i32_e32 v215, v38
	v_cvt_f32_i32_e32 v214, v40
	v_mul_f32_e32 v40, v13, v181
	v_mul_f32_e32 v38, v12, v180
	v_mul_f32_e32 v40, 0x3e000000, v40
	v_pk_fma_f32 v[214:215], v[38:39], v[214:215], v[40:41] op_sel_hi:[0,1,0]
	v_add_f32_e32 v38, v213, v215
	v_add_f32_e32 v213, v214, v38
	v_mov_b32_e32 v38, 0
	v_mov_b32_e32 v40, 0
	v_dot4c_i32_i8_e32 v38, v188, v74
	v_dot4c_i32_i8_e32 v40, v212, v75
	s_nop 1
	v_cvt_f32_i32_e32 v215, v38
	v_cvt_f32_i32_e32 v214, v40
	v_mul_f32_e32 v40, v15, v186
	v_mul_f32_e32 v38, v14, v185
	v_mul_f32_e32 v40, 0x3e000000, v40
	v_pk_fma_f32 v[214:215], v[38:39], v[214:215], v[40:41] op_sel_hi:[0,1,0]
	v_add_f32_e32 v38, v213, v215
	v_add_f32_e32 v38, v214, v38
	ds_bpermute_b32 v40, v197, v38
	s_waitcnt lgkmcnt(0)
	v_add_f32_e32 v38, v38, v40
	ds_bpermute_b32 v40, v198, v38
	s_waitcnt lgkmcnt(0)
	v_add_f32_e32 v38, v38, v40
	v_cmp_nlt_f32_e64 s[12:13], |v38|, s51
                                        ; implicit-def: $vgpr40
	s_and_saveexec_b64 s[14:15], s[12:13]
	s_xor_b64 s[12:13], exec, s[14:15]
	s_cbranch_execz .LBB31_23
; %bb.22:                               ;   in Loop: Header=BB31_21 Depth=1
	v_add_f32_e64 v40, |v38|, |v38|
	v_mul_f32_e32 v213, 0x3fb8aa3b, v40
	v_rndne_f32_e32 v214, v213
	v_sub_f32_e32 v215, v213, v214
	v_fma_f32 v213, v40, s52, -v213
	v_fmac_f32_e32 v213, 0x32a5705f, v40
	v_add_f32_e32 v213, v215, v213
	v_cvt_i32_f32_e32 v214, v214
	v_exp_f32_e32 v213, v213
	v_cmp_ngt_f32_e32 vcc, s53, v40
	v_ldexp_f32 v213, v213, v214
	s_nop 0
	v_cndmask_b32_e32 v213, 0, v213, vcc
	v_cmp_nlt_f32_e32 vcc, s54, v40
	s_nop 1
	v_cndmask_b32_e32 v40, v210, v213, vcc
	v_add_f32_e32 v40, 1.0, v40
	v_rcp_f32_e32 v40, v40
	s_nop 0
	v_fma_f32 v40, v40, -2.0, 1.0
.LBB31_23:                              ;   in Loop: Header=BB31_21 Depth=1
	s_andn2_saveexec_b64 s[12:13], s[12:13]
; %bb.24:                               ;   in Loop: Header=BB31_21 Depth=1
	v_mul_f32_e32 v40, v38, v38
	v_fmamk_f32 v213, v40, 0xbbbac73d, v209
	v_fmaak_f32 v213, v40, v213, 0xbd5c1c4e
	v_fmaak_f32 v213, v40, v213, 0x3e088382
	;; [unrolled: 1-line block ×3, first 2 shown]
	v_mul_f32_e64 v213, |v38|, v213
	v_fma_f32 v40, v40, v213, |v38|
; %bb.25:                               ;   in Loop: Header=BB31_21 Depth=1
	s_or_b64 exec, exec, s[12:13]
	v_bfi_b32 v38, s55, v40, v38
	v_cndmask_b32_e64 v40, 0, 1, s[18:19]
	v_mul_f32_e32 v38, s39, v38
	v_cmp_ne_u32_e64 s[12:13], 1, v40
	s_andn2_b64 vcc, exec, s[18:19]
	v_lshlrev_b32_e32 v40, 1, v92
	s_cbranch_vccnz .LBB31_27
; %bb.26:                               ;   in Loop: Header=BB31_21 Depth=1
	global_load_ushort v213, v40, s[28:29]
	s_waitcnt vmcnt(0)
	v_fma_mix_f32 v38, v194, v213, v38 op_sel_hi:[0,1,0]
.LBB31_27:                              ;   in Loop: Header=BB31_21 Depth=1
	v_mov_b32_e32 v213, 0
	v_dot4c_i32_i8_e32 v213, v183, v76
	v_mul_f32_e32 v42, v17, v42
	v_mul_f32_e32 v43, v16, v43
	;; [unrolled: 1-line block ×3, first 2 shown]
	v_cvt_f32_i32_e32 v183, v213
	v_mov_b32_e32 v213, 0
	v_dot4c_i32_i8_e32 v213, v55, v77
	v_mul_f32_e32 v39, v19, v39
	v_fma_f32 v183, v43, v183, v42
	v_add_f32_e32 v183, 0, v183
	v_cvt_f32_i32_e32 v55, v213
	v_mul_f32_e32 v41, v18, v41
	v_mul_f32_e32 v39, 0x3e000000, v39
	;; [unrolled: 1-line block ×3, first 2 shown]
	v_fmac_f32_e32 v42, v43, v55
	v_mov_b32_e32 v43, 0
	v_dot4c_i32_i8_e32 v43, v50, v78
	v_mov_b32_e32 v50, 0
	v_dot4c_i32_i8_e32 v50, v49, v79
	v_add_f32_e32 v42, v42, v183
	v_cvt_f32_i32_e32 v43, v43
	v_mul_f32_e32 v35, v20, v35
	v_cvt_f32_i32_e32 v49, v50
	v_mul_f32_e32 v34, 0x3e000000, v34
	v_fma_f32 v43, v41, v43, v39
	v_add_f32_e32 v42, v42, v43
	v_fmac_f32_e32 v39, v41, v49
	v_mov_b32_e32 v41, 0
	v_add_f32_e32 v39, v39, v42
	v_dot4c_i32_i8_e32 v41, v44, v80
	v_mov_b32_e32 v42, 0
	v_dot4c_i32_i8_e32 v42, v47, v81
	v_mul_f32_e32 v33, v25, v33
	v_cvt_f32_i32_e32 v41, v41
	v_mul_f32_e32 v32, v24, v32
	v_cvt_f32_i32_e32 v42, v42
	v_fma_f32 v41, v35, v41, v34
	v_add_f32_e32 v39, v39, v41
	v_fmac_f32_e32 v34, v35, v42
	v_add_f32_e32 v39, v34, v39
	v_mov_b32_e32 v34, 0
	v_mov_b32_e32 v41, 0
	v_dot4c_i32_i8_e32 v34, v48, v82
	v_dot4c_i32_i8_e32 v41, v51, v83
	v_mul_f32_e32 v42, v22, v45
	s_nop 0
	v_cvt_f32_i32_e32 v35, v34
	v_cvt_f32_i32_e32 v34, v41
	v_mul_f32_e32 v41, v23, v46
	v_mul_f32_e32 v44, 0x3e000000, v41
	v_mov_b32_e32 v41, 0
	v_pk_fma_f32 v[34:35], v[42:43], v[34:35], v[44:45] op_sel_hi:[0,1,0]
	v_add_f32_e32 v35, v39, v35
	v_add_f32_e32 v39, v34, v35
	v_mov_b32_e32 v34, 0
	v_dot4c_i32_i8_e32 v34, v52, v84
	v_dot4c_i32_i8_e32 v41, v182, v85
	v_mul_f32_e32 v42, 0x3e000000, v33
	s_nop 0
	v_cvt_f32_i32_e32 v35, v34
	v_cvt_f32_i32_e32 v34, v41
	v_pk_fma_f32 v[32:33], v[32:33], v[34:35], v[42:43] op_sel_hi:[0,1,0]
	v_add_f32_e32 v33, v39, v33
	v_add_f32_e32 v35, v32, v33
	v_mov_b32_e32 v32, 0
	v_mov_b32_e32 v34, 0
	v_dot4c_i32_i8_e32 v32, v93, v86
	v_dot4c_i32_i8_e32 v34, v187, v87
	v_mul_f32_e32 v39, v27, v54
	v_mul_f32_e32 v42, 0x3e000000, v39
	v_cvt_f32_i32_e32 v33, v32
	v_cvt_f32_i32_e32 v32, v34
	v_mul_f32_e32 v34, v26, v53
	v_mul_f32_e32 v39, v29, v181
	v_pk_fma_f32 v[32:33], v[34:35], v[32:33], v[42:43] op_sel_hi:[0,1,0]
	v_add_f32_e32 v33, v35, v33
	v_add_f32_e32 v35, v32, v33
	v_mov_b32_e32 v32, 0
	v_mov_b32_e32 v34, 0
	v_dot4c_i32_i8_e32 v32, v184, v88
	v_dot4c_i32_i8_e32 v34, v189, v89
	v_mul_f32_e32 v42, 0x3e000000, v39
	v_mul_f32_e32 v39, v31, v186
	v_cvt_f32_i32_e32 v33, v32
	v_cvt_f32_i32_e32 v32, v34
	v_mul_f32_e32 v34, v28, v180
	v_pk_fma_f32 v[32:33], v[34:35], v[32:33], v[42:43] op_sel_hi:[0,1,0]
	v_add_f32_e32 v33, v35, v33
	v_add_f32_e32 v35, v32, v33
	v_mov_b32_e32 v32, 0
	v_mov_b32_e32 v34, 0
	v_dot4c_i32_i8_e32 v32, v188, v90
	v_dot4c_i32_i8_e32 v34, v212, v91
	v_mul_f32_e32 v42, 0x3e000000, v39
	s_nop 0
	v_cvt_f32_i32_e32 v33, v32
	v_cvt_f32_i32_e32 v32, v34
	v_mul_f32_e32 v34, v30, v185
	v_pk_fma_f32 v[32:33], v[34:35], v[32:33], v[42:43] op_sel_hi:[0,1,0]
	v_add_f32_e32 v33, v35, v33
	v_add_f32_e32 v32, v32, v33
	ds_bpermute_b32 v33, v197, v32
	s_waitcnt lgkmcnt(0)
	v_add_f32_e32 v32, v32, v33
	ds_bpermute_b32 v33, v198, v32
	s_waitcnt lgkmcnt(0)
	v_add_f32_e32 v32, v32, v33
	v_cmp_nlt_f32_e64 s[14:15], |v32|, s51
                                        ; implicit-def: $vgpr33
	s_and_saveexec_b64 s[30:31], s[14:15]
	s_xor_b64 s[14:15], exec, s[30:31]
	s_cbranch_execz .LBB31_29
; %bb.28:                               ;   in Loop: Header=BB31_21 Depth=1
	v_add_f32_e64 v33, |v32|, |v32|
	v_mul_f32_e32 v34, 0x3fb8aa3b, v33
	v_rndne_f32_e32 v35, v34
	v_sub_f32_e32 v39, v34, v35
	v_fma_f32 v34, v33, s52, -v34
	v_fmac_f32_e32 v34, 0x32a5705f, v33
	v_add_f32_e32 v34, v39, v34
	v_cvt_i32_f32_e32 v35, v35
	v_exp_f32_e32 v34, v34
	v_cmp_ngt_f32_e32 vcc, s53, v33
	v_ldexp_f32 v34, v34, v35
	s_nop 0
	v_cndmask_b32_e32 v34, 0, v34, vcc
	v_cmp_nlt_f32_e32 vcc, s54, v33
	s_nop 1
	v_cndmask_b32_e32 v33, v210, v34, vcc
	v_add_f32_e32 v33, 1.0, v33
	v_rcp_f32_e32 v33, v33
	s_nop 0
	v_fma_f32 v33, v33, -2.0, 1.0
.LBB31_29:                              ;   in Loop: Header=BB31_21 Depth=1
	s_andn2_saveexec_b64 s[14:15], s[14:15]
; %bb.30:                               ;   in Loop: Header=BB31_21 Depth=1
	v_mul_f32_e32 v33, v32, v32
	v_fmamk_f32 v34, v33, 0xbbbac73d, v209
	v_fmaak_f32 v34, v33, v34, 0xbd5c1c4e
	v_fmaak_f32 v34, v33, v34, 0x3e088382
	;; [unrolled: 1-line block ×3, first 2 shown]
	v_mul_f32_e64 v34, |v32|, v34
	v_fma_f32 v33, v33, v34, |v32|
; %bb.31:                               ;   in Loop: Header=BB31_21 Depth=1
	s_or_b64 exec, exec, s[14:15]
	v_bfi_b32 v32, s55, v33, v32
	v_cndmask_b32_e64 v33, 0, 1, s[46:47]
	v_cmp_ne_u32_e64 s[14:15], 1, v33
	s_andn2_b64 vcc, exec, s[46:47]
	v_mul_f32_e32 v39, s39, v32
	s_cbranch_vccnz .LBB31_33
; %bb.32:                               ;   in Loop: Header=BB31_21 Depth=1
	v_lshl_add_u64 v[32:33], v[96:97], 1, s[28:29]
	global_load_ushort v32, v[32:33], off
	s_waitcnt vmcnt(0)
	v_fma_mix_f32 v39, v194, v32, v39 op_sel_hi:[0,1,0]
.LBB31_33:                              ;   in Loop: Header=BB31_21 Depth=1
	v_lshl_add_u64 v[32:33], s[44:45], 0, v[98:99]
	global_load_dwordx2 v[34:35], v[32:33], off
	global_load_dwordx2 v[46:47], v[32:33], off offset:24
	global_load_dwordx2 v[48:49], v[32:33], off offset:48
	v_lshl_add_u64 v[42:43], v[32:33], 0, v[58:59]
	global_load_dword v41, v[42:43], off offset:8
	global_load_dword v50, v[42:43], off offset:32
	;; [unrolled: 1-line block ×3, first 2 shown]
	global_load_dwordx2 v[54:55], v[32:33], off offset:72
	global_load_dwordx2 v[182:183], v[32:33], off offset:96
	global_load_dwordx2 v[186:187], v[32:33], off offset:120
	global_load_dword v53, v[42:43], off offset:80
	global_load_dword v93, v[42:43], off offset:104
	;; [unrolled: 1-line block ×5, first 2 shown]
	s_waitcnt vmcnt(9)
	v_and_b32_e32 v215, 0xf0f0f0f, v50
	s_waitcnt vmcnt(8)
	v_and_b32_e32 v224, 0xf0f0f0f, v51
	v_lshrrev_b32_e32 v51, 4, v51
	v_and_b32_e32 v228, 0xf0f0f0f, v51
	v_lshrrev_b32_e32 v50, 4, v50
	v_ashrrev_i32_e32 v180, v203, v35
	v_ashrrev_i32_e32 v52, v58, v35
	v_cvt_f32_f16_e32 v45, v34
	v_cvt_f32_f16_sdwa v44, v34 dst_sel:DWORD dst_unused:UNUSED_PAD src0_sel:WORD_1
	v_cvt_f32_f16_e32 v35, v48
	v_cvt_f32_f16_sdwa v34, v48 dst_sel:DWORD dst_unused:UNUSED_PAD src0_sel:WORD_1
	v_and_b32_e32 v48, 0xf0f0f0f, v41
	v_lshrrev_b32_e32 v41, 4, v41
	v_lshlrev_b32_e32 v212, 4, v180
	v_lshlrev_b32_e32 v213, 11, v180
	;; [unrolled: 1-line block ×4, first 2 shown]
	v_and_b32_e32 v41, 0xf0f0f0f, v41
	v_and_b32_e32 v214, 0x100000, v214
	;; [unrolled: 1-line block ×5, first 2 shown]
	v_or3_b32 v41, v180, v41, v214
	v_or3_b32 v180, v41, v212, v213
	global_load_dwordx2 v[212:213], v[32:33], off offset:144
	v_ashrrev_i32_e32 v181, v58, v47
	v_lshlrev_b32_e32 v218, 4, v181
	v_lshlrev_b32_e32 v219, 11, v181
	;; [unrolled: 1-line block ×4, first 2 shown]
	v_and_b32_e32 v220, 0x100000, v220
	v_and_b32_e32 v181, 0x10000000, v181
	v_or3_b32 v51, v181, v215, v220
	global_load_dwordx2 v[214:215], v[32:33], off offset:168
	v_cvt_f32_f16_e32 v43, v46
	v_cvt_f32_f16_sdwa v42, v46 dst_sel:DWORD dst_unused:UNUSED_PAD src0_sel:WORD_1
	v_ashrrev_i32_e32 v46, v203, v47
	v_ashrrev_i32_e32 v47, v58, v49
	v_lshlrev_b32_e32 v184, 4, v52
	v_lshlrev_b32_e32 v185, 11, v52
	;; [unrolled: 1-line block ×12, first 2 shown]
	v_and_b32_e32 v189, 0x100000, v189
	v_and_b32_e32 v52, 0x10000000, v52
	;; [unrolled: 1-line block ×15, first 2 shown]
	v_or3_b32 v48, v52, v48, v189
	v_or3_b32 v46, v46, v50, v223
	;; [unrolled: 1-line block ×3, first 2 shown]
	v_ashrrev_i32_e32 v41, v203, v49
	v_or3_b32 v185, v48, v184, v185
	v_or3_b32 v52, v51, v218, v219
	;; [unrolled: 1-line block ×4, first 2 shown]
	v_lshlrev_b32_e32 v47, 4, v41
	v_lshlrev_b32_e32 v48, 11, v41
	;; [unrolled: 1-line block ×4, first 2 shown]
	v_and_b32_e32 v49, 0x100000, v49
	v_and_b32_e32 v41, 0x10000000, v41
	;; [unrolled: 1-line block ×4, first 2 shown]
	v_or3_b32 v41, v41, v228, v49
	v_or3_b32 v49, v41, v47, v48
	s_waitcnt vmcnt(9)
	v_ashrrev_i32_e32 v47, v58, v55
	v_lshlrev_b32_e32 v48, 4, v47
	v_lshlrev_b32_e32 v50, 11, v47
	;; [unrolled: 1-line block ×4, first 2 shown]
	s_waitcnt vmcnt(6)
	v_and_b32_e32 v41, 0xf0f0f0f, v53
	v_and_b32_e32 v181, 0x100000, v181
	;; [unrolled: 1-line block ×5, first 2 shown]
	v_or3_b32 v41, v47, v41, v181
	v_or3_b32 v50, v41, v48, v50
	v_lshrrev_b32_e32 v41, 4, v53
	v_ashrrev_i32_e32 v53, v203, v55
	v_cvt_f32_f16_e32 v47, v54
	v_cvt_f32_f16_sdwa v48, v54 dst_sel:DWORD dst_unused:UNUSED_PAD src0_sel:WORD_1
	v_lshlrev_b32_e32 v54, 4, v53
	v_lshlrev_b32_e32 v55, 11, v53
	;; [unrolled: 1-line block ×4, first 2 shown]
	v_and_b32_e32 v41, 0xf0f0f0f, v41
	v_and_b32_e32 v181, 0x100000, v181
	;; [unrolled: 1-line block ×5, first 2 shown]
	v_or3_b32 v41, v53, v41, v181
	v_ashrrev_i32_e32 v32, v58, v183
	v_or3_b32 v53, v41, v54, v55
	v_lshlrev_b32_e32 v33, 4, v32
	v_lshlrev_b32_e32 v54, 11, v32
	;; [unrolled: 1-line block ×4, first 2 shown]
	s_waitcnt vmcnt(5)
	v_and_b32_e32 v41, 0xf0f0f0f, v93
	v_and_b32_e32 v55, 0x100000, v55
	v_and_b32_e32 v32, 0x10000000, v32
	v_and_b32_e32 v33, 16, v33
	v_and_b32_e32 v54, 0x1000, v54
	v_or3_b32 v32, v32, v41, v55
	v_ashrrev_i32_e32 v55, v203, v183
	v_or3_b32 v54, v32, v33, v54
	v_cvt_f32_f16_e32 v32, v182
	v_cvt_f32_f16_sdwa v33, v182 dst_sel:DWORD dst_unused:UNUSED_PAD src0_sel:WORD_1
	v_lshrrev_b32_e32 v41, 4, v93
	v_lshlrev_b32_e32 v93, 4, v55
	v_lshlrev_b32_e32 v181, 11, v55
	v_lshlrev_b32_e32 v182, 18, v55
	v_lshlrev_b32_e32 v55, 25, v55
	v_and_b32_e32 v41, 0xf0f0f0f, v41
	v_and_b32_e32 v182, 0x100000, v182
	;; [unrolled: 1-line block ×5, first 2 shown]
	v_or3_b32 v41, v55, v41, v182
	v_ashrrev_i32_e32 v55, v58, v187
	v_or3_b32 v184, v41, v93, v181
	v_lshlrev_b32_e32 v93, 4, v55
	v_lshlrev_b32_e32 v181, 11, v55
	;; [unrolled: 1-line block ×4, first 2 shown]
	s_waitcnt vmcnt(4)
	v_and_b32_e32 v41, 0xf0f0f0f, v188
	v_and_b32_e32 v182, 0x100000, v182
	;; [unrolled: 1-line block ×5, first 2 shown]
	v_or3_b32 v41, v55, v41, v182
	v_ashrrev_i32_e32 v182, v203, v187
	v_or3_b32 v181, v41, v93, v181
	v_cvt_f32_f16_e32 v55, v186
	v_cvt_f32_f16_sdwa v93, v186 dst_sel:DWORD dst_unused:UNUSED_PAD src0_sel:WORD_1
	v_lshrrev_b32_e32 v41, 4, v188
	v_lshlrev_b32_e32 v183, 4, v182
	v_lshlrev_b32_e32 v186, 11, v182
	;; [unrolled: 1-line block ×4, first 2 shown]
	v_and_b32_e32 v41, 0xf0f0f0f, v41
	v_and_b32_e32 v187, 0x100000, v187
	v_and_b32_e32 v182, 0x10000000, v182
	v_and_b32_e32 v183, 16, v183
	v_and_b32_e32 v186, 0x1000, v186
	v_or3_b32 v41, v182, v41, v187
	s_waitcnt vmcnt(1)
	v_ashrrev_i32_e32 v182, v58, v213
	v_or3_b32 v189, v41, v183, v186
	v_lshlrev_b32_e32 v183, 4, v182
	v_lshlrev_b32_e32 v186, 11, v182
	;; [unrolled: 1-line block ×4, first 2 shown]
	v_and_b32_e32 v41, 0xf0f0f0f, v216
	v_and_b32_e32 v187, 0x100000, v187
	;; [unrolled: 1-line block ×5, first 2 shown]
	v_or3_b32 v41, v182, v41, v187
	v_ashrrev_i32_e32 v187, v203, v213
	v_or3_b32 v186, v41, v183, v186
	v_cvt_f32_f16_e32 v182, v212
	v_cvt_f32_f16_sdwa v183, v212 dst_sel:DWORD dst_unused:UNUSED_PAD src0_sel:WORD_1
	v_lshrrev_b32_e32 v41, 4, v216
	v_lshlrev_b32_e32 v188, 4, v187
	v_lshlrev_b32_e32 v212, 11, v187
	;; [unrolled: 1-line block ×4, first 2 shown]
	v_and_b32_e32 v41, 0xf0f0f0f, v41
	v_and_b32_e32 v213, 0x100000, v213
	;; [unrolled: 1-line block ×5, first 2 shown]
	v_or3_b32 v41, v187, v41, v213
	s_waitcnt vmcnt(0)
	v_ashrrev_i32_e32 v187, v58, v215
	v_or3_b32 v213, v41, v188, v212
	v_lshlrev_b32_e32 v188, 4, v187
	v_lshlrev_b32_e32 v212, 11, v187
	;; [unrolled: 1-line block ×4, first 2 shown]
	v_and_b32_e32 v41, 0xf0f0f0f, v217
	v_and_b32_e32 v216, 0x100000, v216
	;; [unrolled: 1-line block ×5, first 2 shown]
	v_or3_b32 v41, v187, v41, v216
	v_or3_b32 v212, v41, v188, v212
	v_cvt_f32_f16_e32 v187, v214
	v_cvt_f32_f16_sdwa v188, v214 dst_sel:DWORD dst_unused:UNUSED_PAD src0_sel:WORD_1
	v_ashrrev_i32_e32 v214, v203, v215
	v_lshrrev_b32_e32 v41, 4, v217
	v_lshlrev_b32_e32 v215, 4, v214
	v_lshlrev_b32_e32 v216, 11, v214
	;; [unrolled: 1-line block ×4, first 2 shown]
	v_and_b32_e32 v41, 0xf0f0f0f, v41
	v_and_b32_e32 v217, 0x100000, v217
	;; [unrolled: 1-line block ×5, first 2 shown]
	v_or3_b32 v41, v214, v41, v217
	v_or3_b32 v214, v41, v215, v216
	v_mov_b32_e32 v41, 0
	v_mov_b32_e32 v217, 0
	v_dot4c_i32_i8_e32 v41, v185, v60
	v_dot4c_i32_i8_e32 v217, v180, v61
	v_mul_f32_e32 v216, v1, v44
	v_mul_f32_e32 v215, v0, v45
	v_cvt_f32_i32_e32 v41, v41
	v_cvt_f32_i32_e32 v217, v217
	v_mul_f32_e32 v216, 0x3e000000, v216
	v_mov_b32_e32 v218, 0
	v_fma_f32 v41, v215, v41, v216
	v_fmac_f32_e32 v216, v215, v217
	v_mov_b32_e32 v215, 0
	v_dot4c_i32_i8_e32 v215, v52, v62
	v_dot4c_i32_i8_e32 v218, v51, v63
	v_add_f32_e32 v41, 0, v41
	v_mul_f32_e32 v217, v3, v42
	v_cvt_f32_i32_e32 v215, v215
	v_cvt_f32_i32_e32 v218, v218
	v_add_f32_e32 v41, v216, v41
	v_mul_f32_e32 v216, v2, v43
	v_mul_f32_e32 v217, 0x3e000000, v217
	v_fma_f32 v215, v216, v215, v217
	v_add_f32_e32 v41, v41, v215
	v_mov_b32_e32 v215, 0
	v_fmac_f32_e32 v217, v216, v218
	v_dot4c_i32_i8_e32 v215, v46, v64
	v_mov_b32_e32 v218, 0
	v_dot4c_i32_i8_e32 v218, v49, v65
	v_add_f32_e32 v41, v217, v41
	v_cvt_f32_i32_e32 v215, v215
	v_mul_f32_e32 v217, v5, v34
	v_cvt_f32_i32_e32 v218, v218
	v_mul_f32_e32 v216, v4, v35
	v_mul_f32_e32 v217, 0x3e000000, v217
	v_fma_f32 v215, v216, v215, v217
	v_add_f32_e32 v41, v41, v215
	v_fmac_f32_e32 v217, v216, v218
	v_mov_b32_e32 v215, 0
	v_mov_b32_e32 v216, 0
	v_dot4c_i32_i8_e32 v215, v50, v66
	v_dot4c_i32_i8_e32 v216, v53, v67
	v_add_f32_e32 v41, v217, v41
	v_mul_f32_e32 v218, v6, v47
	v_cvt_f32_i32_e32 v217, v215
	v_cvt_f32_i32_e32 v216, v216
	v_mul_f32_e32 v215, v7, v48
	v_mul_f32_e32 v220, 0x3e000000, v215
	v_mov_b32_e32 v215, 0
	v_pk_fma_f32 v[216:217], v[218:219], v[216:217], v[220:221] op_sel_hi:[0,1,0]
	v_add_f32_e32 v41, v41, v217
	v_add_f32_e32 v41, v216, v41
	v_mov_b32_e32 v216, 0
	v_dot4c_i32_i8_e32 v215, v54, v68
	v_dot4c_i32_i8_e32 v216, v184, v69
	v_mul_f32_e32 v218, v8, v32
	s_nop 0
	v_cvt_f32_i32_e32 v217, v215
	v_cvt_f32_i32_e32 v216, v216
	v_mul_f32_e32 v215, v9, v33
	v_mul_f32_e32 v220, 0x3e000000, v215
	v_mov_b32_e32 v215, 0
	v_pk_fma_f32 v[216:217], v[218:219], v[216:217], v[220:221] op_sel_hi:[0,1,0]
	v_add_f32_e32 v41, v41, v217
	v_add_f32_e32 v41, v216, v41
	v_mov_b32_e32 v216, 0
	v_dot4c_i32_i8_e32 v215, v181, v70
	v_dot4c_i32_i8_e32 v216, v189, v71
	v_mul_f32_e32 v218, v10, v55
	s_nop 0
	;; [unrolled: 13-line block ×4, first 2 shown]
	v_cvt_f32_i32_e32 v217, v215
	v_cvt_f32_i32_e32 v216, v216
	v_mul_f32_e32 v215, v15, v188
	v_mul_f32_e32 v220, 0x3e000000, v215
	v_pk_fma_f32 v[216:217], v[218:219], v[216:217], v[220:221] op_sel_hi:[0,1,0]
	v_add_f32_e32 v41, v41, v217
	v_add_f32_e32 v41, v216, v41
	ds_bpermute_b32 v215, v197, v41
	s_waitcnt lgkmcnt(0)
	v_add_f32_e32 v41, v41, v215
	ds_bpermute_b32 v215, v198, v41
	s_waitcnt lgkmcnt(0)
	v_add_f32_e32 v41, v41, v215
	v_cmp_nlt_f32_e64 s[30:31], |v41|, s51
                                        ; implicit-def: $vgpr215
	s_and_saveexec_b64 s[48:49], s[30:31]
	s_xor_b64 s[30:31], exec, s[48:49]
	s_cbranch_execz .LBB31_35
; %bb.34:                               ;   in Loop: Header=BB31_21 Depth=1
	v_add_f32_e64 v215, |v41|, |v41|
	v_mul_f32_e32 v216, 0x3fb8aa3b, v215
	v_rndne_f32_e32 v217, v216
	v_sub_f32_e32 v218, v216, v217
	v_fma_f32 v216, v215, s52, -v216
	v_fmac_f32_e32 v216, 0x32a5705f, v215
	v_add_f32_e32 v216, v218, v216
	v_cvt_i32_f32_e32 v217, v217
	v_exp_f32_e32 v216, v216
	v_cmp_ngt_f32_e32 vcc, s53, v215
	v_ldexp_f32 v216, v216, v217
	s_nop 0
	v_cndmask_b32_e32 v216, 0, v216, vcc
	v_cmp_nlt_f32_e32 vcc, s54, v215
	s_nop 1
	v_cndmask_b32_e32 v215, v210, v216, vcc
	v_add_f32_e32 v215, 1.0, v215
	v_rcp_f32_e32 v215, v215
	s_nop 0
	v_fma_f32 v215, v215, -2.0, 1.0
.LBB31_35:                              ;   in Loop: Header=BB31_21 Depth=1
	s_andn2_saveexec_b64 s[30:31], s[30:31]
; %bb.36:                               ;   in Loop: Header=BB31_21 Depth=1
	v_mul_f32_e32 v215, v41, v41
	v_fmamk_f32 v216, v215, 0xbbbac73d, v209
	v_fmaak_f32 v216, v215, v216, 0xbd5c1c4e
	v_fmaak_f32 v216, v215, v216, 0x3e088382
	;; [unrolled: 1-line block ×3, first 2 shown]
	v_mul_f32_e64 v216, |v41|, v216
	v_fma_f32 v215, v215, v216, |v41|
; %bb.37:                               ;   in Loop: Header=BB31_21 Depth=1
	s_or_b64 exec, exec, s[30:31]
	v_bfi_b32 v41, s55, v215, v41
	s_and_b64 vcc, exec, s[12:13]
	v_mul_f32_e32 v41, s39, v41
	s_cbranch_vccnz .LBB31_39
; %bb.38:                               ;   in Loop: Header=BB31_21 Depth=1
	global_load_ushort v215, v40, s[28:29] offset:2
	s_waitcnt vmcnt(0)
	v_fma_mix_f32 v41, v194, v215, v41 op_sel_hi:[0,1,0]
.LBB31_39:                              ;   in Loop: Header=BB31_21 Depth=1
	v_mov_b32_e32 v215, 0
	v_dot4c_i32_i8_e32 v215, v185, v76
	v_mul_f32_e32 v44, v17, v44
	v_mul_f32_e32 v45, v16, v45
	;; [unrolled: 1-line block ×3, first 2 shown]
	v_cvt_f32_i32_e32 v185, v215
	v_mov_b32_e32 v215, 0
	v_dot4c_i32_i8_e32 v215, v180, v77
	v_mul_f32_e32 v42, v19, v42
	v_fma_f32 v185, v45, v185, v44
	v_add_f32_e32 v185, 0, v185
	v_cvt_f32_i32_e32 v180, v215
	v_mul_f32_e32 v43, v18, v43
	v_mul_f32_e32 v42, 0x3e000000, v42
	;; [unrolled: 1-line block ×3, first 2 shown]
	v_fmac_f32_e32 v44, v45, v180
	v_mov_b32_e32 v45, 0
	v_dot4c_i32_i8_e32 v45, v52, v78
	v_mov_b32_e32 v52, 0
	v_dot4c_i32_i8_e32 v52, v51, v79
	v_add_f32_e32 v44, v44, v185
	v_cvt_f32_i32_e32 v45, v45
	v_mul_f32_e32 v35, v20, v35
	v_cvt_f32_i32_e32 v51, v52
	v_mul_f32_e32 v34, 0x3e000000, v34
	v_fma_f32 v45, v43, v45, v42
	v_add_f32_e32 v44, v44, v45
	v_fmac_f32_e32 v42, v43, v51
	v_mov_b32_e32 v43, 0
	v_add_f32_e32 v42, v42, v44
	v_dot4c_i32_i8_e32 v43, v46, v80
	v_mov_b32_e32 v44, 0
	v_dot4c_i32_i8_e32 v44, v49, v81
	v_mul_f32_e32 v33, v25, v33
	v_cvt_f32_i32_e32 v43, v43
	v_mul_f32_e32 v32, v24, v32
	v_cvt_f32_i32_e32 v44, v44
	v_fma_f32 v43, v35, v43, v34
	v_add_f32_e32 v42, v42, v43
	v_fmac_f32_e32 v34, v35, v44
	v_add_f32_e32 v43, v34, v42
	v_mov_b32_e32 v34, 0
	v_mov_b32_e32 v42, 0
	v_dot4c_i32_i8_e32 v34, v50, v82
	v_dot4c_i32_i8_e32 v42, v53, v83
	v_mul_f32_e32 v44, v23, v48
	v_mul_f32_e32 v44, 0x3e000000, v44
	v_cvt_f32_i32_e32 v35, v34
	v_cvt_f32_i32_e32 v34, v42
	v_mul_f32_e32 v42, v22, v47
	v_pk_fma_f32 v[34:35], v[42:43], v[34:35], v[44:45] op_sel_hi:[0,1,0]
	v_add_f32_e32 v35, v43, v35
	v_add_f32_e32 v43, v34, v35
	v_mov_b32_e32 v34, 0
	v_mov_b32_e32 v42, 0
	v_dot4c_i32_i8_e32 v34, v54, v84
	v_dot4c_i32_i8_e32 v42, v184, v85
	s_nop 1
	v_cvt_f32_i32_e32 v35, v34
	v_cvt_f32_i32_e32 v34, v42
	v_mul_f32_e32 v42, 0x3e000000, v33
	v_pk_fma_f32 v[32:33], v[32:33], v[34:35], v[42:43] op_sel_hi:[0,1,0]
	v_add_f32_e32 v33, v43, v33
	v_add_f32_e32 v35, v32, v33
	v_mov_b32_e32 v32, 0
	v_mov_b32_e32 v34, 0
	v_dot4c_i32_i8_e32 v32, v181, v86
	v_dot4c_i32_i8_e32 v34, v189, v87
	v_mul_f32_e32 v42, v27, v93
	v_mul_f32_e32 v42, 0x3e000000, v42
	v_cvt_f32_i32_e32 v33, v32
	v_cvt_f32_i32_e32 v32, v34
	v_mul_f32_e32 v34, v26, v55
	v_pk_fma_f32 v[32:33], v[34:35], v[32:33], v[42:43] op_sel_hi:[0,1,0]
	v_add_f32_e32 v33, v35, v33
	v_add_f32_e32 v35, v32, v33
	v_mov_b32_e32 v32, 0
	v_mov_b32_e32 v34, 0
	v_dot4c_i32_i8_e32 v32, v186, v88
	v_dot4c_i32_i8_e32 v34, v213, v89
	v_mul_f32_e32 v42, v29, v183
	v_mul_f32_e32 v42, 0x3e000000, v42
	v_cvt_f32_i32_e32 v33, v32
	v_cvt_f32_i32_e32 v32, v34
	v_mul_f32_e32 v34, v28, v182
	v_pk_fma_f32 v[32:33], v[34:35], v[32:33], v[42:43] op_sel_hi:[0,1,0]
	v_add_f32_e32 v33, v35, v33
	v_add_f32_e32 v35, v32, v33
	v_mov_b32_e32 v32, 0
	v_mov_b32_e32 v34, 0
	v_dot4c_i32_i8_e32 v32, v212, v90
	v_dot4c_i32_i8_e32 v34, v214, v91
	v_mul_f32_e32 v42, v31, v188
	v_mul_f32_e32 v42, 0x3e000000, v42
	v_cvt_f32_i32_e32 v33, v32
	v_cvt_f32_i32_e32 v32, v34
	v_mul_f32_e32 v34, v30, v187
	v_pk_fma_f32 v[32:33], v[34:35], v[32:33], v[42:43] op_sel_hi:[0,1,0]
	v_add_f32_e32 v33, v35, v33
	v_add_f32_e32 v32, v32, v33
	ds_bpermute_b32 v33, v197, v32
	s_waitcnt lgkmcnt(0)
	v_add_f32_e32 v32, v32, v33
	ds_bpermute_b32 v33, v198, v32
	s_waitcnt lgkmcnt(0)
	v_add_f32_e32 v32, v32, v33
	v_cmp_nlt_f32_e64 s[30:31], |v32|, s51
                                        ; implicit-def: $vgpr33
	s_and_saveexec_b64 s[48:49], s[30:31]
	s_xor_b64 s[30:31], exec, s[48:49]
	s_cbranch_execz .LBB31_41
; %bb.40:                               ;   in Loop: Header=BB31_21 Depth=1
	v_add_f32_e64 v33, |v32|, |v32|
	v_mul_f32_e32 v34, 0x3fb8aa3b, v33
	v_rndne_f32_e32 v35, v34
	v_sub_f32_e32 v42, v34, v35
	v_fma_f32 v34, v33, s52, -v34
	v_fmac_f32_e32 v34, 0x32a5705f, v33
	v_add_f32_e32 v34, v42, v34
	v_cvt_i32_f32_e32 v35, v35
	v_exp_f32_e32 v34, v34
	v_cmp_ngt_f32_e32 vcc, s53, v33
	v_ldexp_f32 v34, v34, v35
	s_nop 0
	v_cndmask_b32_e32 v34, 0, v34, vcc
	v_cmp_nlt_f32_e32 vcc, s54, v33
	s_nop 1
	v_cndmask_b32_e32 v33, v210, v34, vcc
	v_add_f32_e32 v33, 1.0, v33
	v_rcp_f32_e32 v33, v33
	s_nop 0
	v_fma_f32 v33, v33, -2.0, 1.0
.LBB31_41:                              ;   in Loop: Header=BB31_21 Depth=1
	s_andn2_saveexec_b64 s[30:31], s[30:31]
; %bb.42:                               ;   in Loop: Header=BB31_21 Depth=1
	v_mul_f32_e32 v33, v32, v32
	v_fmamk_f32 v34, v33, 0xbbbac73d, v209
	v_fmaak_f32 v34, v33, v34, 0xbd5c1c4e
	v_fmaak_f32 v34, v33, v34, 0x3e088382
	;; [unrolled: 1-line block ×3, first 2 shown]
	v_mul_f32_e64 v34, |v32|, v34
	v_fma_f32 v33, v33, v34, |v32|
; %bb.43:                               ;   in Loop: Header=BB31_21 Depth=1
	s_or_b64 exec, exec, s[30:31]
	v_bfi_b32 v32, s55, v33, v32
	v_mul_f32_e32 v42, s39, v32
	s_and_b64 vcc, exec, s[14:15]
	v_lshl_add_u64 v[32:33], v[176:177], 1, s[28:29]
	s_cbranch_vccnz .LBB31_45
; %bb.44:                               ;   in Loop: Header=BB31_21 Depth=1
	global_load_ushort v34, v[32:33], off offset:2
	s_waitcnt vmcnt(0)
	v_fma_mix_f32 v42, v194, v34, v42 op_sel_hi:[0,1,0]
.LBB31_45:                              ;   in Loop: Header=BB31_21 Depth=1
	v_lshl_add_u64 v[34:35], s[44:45], 0, v[100:101]
	global_load_dwordx2 v[44:45], v[34:35], off
	global_load_dwordx2 v[50:51], v[34:35], off offset:24
	global_load_dwordx2 v[52:53], v[34:35], off offset:48
	v_lshl_add_u64 v[46:47], v[34:35], 0, v[58:59]
	global_load_dword v43, v[46:47], off offset:8
	global_load_dword v54, v[46:47], off offset:32
	;; [unrolled: 1-line block ×3, first 2 shown]
	global_load_dwordx2 v[180:181], v[34:35], off offset:72
	global_load_dwordx2 v[182:183], v[34:35], off offset:96
	;; [unrolled: 1-line block ×3, first 2 shown]
	global_load_dword v185, v[46:47], off offset:80
	global_load_dword v188, v[46:47], off offset:104
	;; [unrolled: 1-line block ×5, first 2 shown]
	s_waitcnt vmcnt(9)
	v_and_b32_e32 v221, 0xf0f0f0f, v54
	v_lshrrev_b32_e32 v54, 4, v54
	s_waitcnt vmcnt(8)
	v_and_b32_e32 v228, 0xf0f0f0f, v55
	v_lshrrev_b32_e32 v55, 4, v55
	v_and_b32_e32 v54, 0xf0f0f0f, v54
	v_ashrrev_i32_e32 v184, v203, v45
	v_ashrrev_i32_e32 v93, v58, v45
	v_cvt_f32_f16_e32 v49, v44
	v_cvt_f32_f16_sdwa v48, v44 dst_sel:DWORD dst_unused:UNUSED_PAD src0_sel:WORD_1
	v_cvt_f32_f16_e32 v45, v52
	v_cvt_f32_f16_sdwa v44, v52 dst_sel:DWORD dst_unused:UNUSED_PAD src0_sel:WORD_1
	v_and_b32_e32 v52, 0xf0f0f0f, v43
	v_lshrrev_b32_e32 v43, 4, v43
	v_lshlrev_b32_e32 v217, 4, v184
	v_lshlrev_b32_e32 v218, 11, v184
	v_lshlrev_b32_e32 v219, 18, v184
	v_lshlrev_b32_e32 v184, 25, v184
	v_lshlrev_b32_e32 v214, 4, v93
	v_lshlrev_b32_e32 v215, 11, v93
	v_lshlrev_b32_e32 v216, 18, v93
	v_lshlrev_b32_e32 v93, 25, v93
	v_and_b32_e32 v43, 0xf0f0f0f, v43
	v_and_b32_e32 v219, 0x100000, v219
	;; [unrolled: 1-line block ×7, first 2 shown]
	v_or3_b32 v43, v184, v43, v219
	v_or3_b32 v52, v93, v52, v216
	;; [unrolled: 1-line block ×3, first 2 shown]
	global_load_dwordx2 v[216:217], v[34:35], off offset:144
	global_load_dwordx2 v[218:219], v[34:35], off offset:168
	v_ashrrev_i32_e32 v189, v58, v51
	v_cvt_f32_f16_e32 v47, v50
	v_cvt_f32_f16_sdwa v46, v50 dst_sel:DWORD dst_unused:UNUSED_PAD src0_sel:WORD_1
	v_ashrrev_i32_e32 v50, v203, v51
	v_ashrrev_i32_e32 v51, v58, v53
	v_lshlrev_b32_e32 v222, 4, v189
	v_lshlrev_b32_e32 v223, 11, v189
	;; [unrolled: 1-line block ×12, first 2 shown]
	v_and_b32_e32 v224, 0x100000, v224
	v_and_b32_e32 v189, 0x10000000, v189
	;; [unrolled: 1-line block ×15, first 2 shown]
	v_or3_b32 v55, v189, v221, v224
	v_or3_b32 v50, v50, v54, v227
	;; [unrolled: 1-line block ×3, first 2 shown]
	v_ashrrev_i32_e32 v43, v203, v53
	v_or3_b32 v189, v52, v214, v215
	v_or3_b32 v93, v55, v222, v223
	;; [unrolled: 1-line block ×4, first 2 shown]
	v_lshlrev_b32_e32 v51, 4, v43
	v_lshlrev_b32_e32 v52, 11, v43
	;; [unrolled: 1-line block ×4, first 2 shown]
	v_and_b32_e32 v53, 0x100000, v53
	v_and_b32_e32 v43, 0x10000000, v43
	v_and_b32_e32 v51, 16, v51
	v_and_b32_e32 v52, 0x1000, v52
	v_or3_b32 v43, v43, v232, v53
	v_or3_b32 v53, v43, v51, v52
	s_waitcnt vmcnt(9)
	v_ashrrev_i32_e32 v51, v58, v181
	v_lshlrev_b32_e32 v52, 4, v51
	v_lshlrev_b32_e32 v54, 11, v51
	;; [unrolled: 1-line block ×4, first 2 shown]
	s_waitcnt vmcnt(6)
	v_and_b32_e32 v43, 0xf0f0f0f, v185
	v_and_b32_e32 v214, 0x100000, v214
	;; [unrolled: 1-line block ×5, first 2 shown]
	v_or3_b32 v43, v51, v43, v214
	v_or3_b32 v54, v43, v52, v54
	v_cvt_f32_f16_e32 v51, v180
	v_cvt_f32_f16_sdwa v52, v180 dst_sel:DWORD dst_unused:UNUSED_PAD src0_sel:WORD_1
	v_ashrrev_i32_e32 v180, v203, v181
	v_lshrrev_b32_e32 v43, 4, v185
	v_lshlrev_b32_e32 v181, 4, v180
	v_lshlrev_b32_e32 v185, 11, v180
	;; [unrolled: 1-line block ×4, first 2 shown]
	v_and_b32_e32 v43, 0xf0f0f0f, v43
	v_and_b32_e32 v214, 0x100000, v214
	;; [unrolled: 1-line block ×5, first 2 shown]
	v_or3_b32 v43, v180, v43, v214
	v_ashrrev_i32_e32 v34, v58, v183
	v_or3_b32 v180, v43, v181, v185
	v_lshlrev_b32_e32 v35, 4, v34
	v_lshlrev_b32_e32 v181, 11, v34
	v_lshlrev_b32_e32 v185, 18, v34
	v_lshlrev_b32_e32 v34, 25, v34
	s_waitcnt vmcnt(5)
	v_and_b32_e32 v43, 0xf0f0f0f, v188
	v_and_b32_e32 v185, 0x100000, v185
	;; [unrolled: 1-line block ×5, first 2 shown]
	v_or3_b32 v34, v34, v43, v185
	v_or3_b32 v181, v34, v35, v181
	v_cvt_f32_f16_e32 v34, v182
	v_cvt_f32_f16_sdwa v35, v182 dst_sel:DWORD dst_unused:UNUSED_PAD src0_sel:WORD_1
	v_ashrrev_i32_e32 v182, v203, v183
	v_lshrrev_b32_e32 v43, 4, v188
	v_lshlrev_b32_e32 v183, 4, v182
	v_lshlrev_b32_e32 v185, 11, v182
	;; [unrolled: 1-line block ×4, first 2 shown]
	v_and_b32_e32 v43, 0xf0f0f0f, v43
	v_and_b32_e32 v188, 0x100000, v188
	;; [unrolled: 1-line block ×5, first 2 shown]
	v_or3_b32 v43, v182, v43, v188
	v_ashrrev_i32_e32 v182, v58, v187
	v_or3_b32 v188, v43, v183, v185
	v_lshlrev_b32_e32 v183, 4, v182
	v_lshlrev_b32_e32 v185, 11, v182
	;; [unrolled: 1-line block ×4, first 2 shown]
	s_waitcnt vmcnt(4)
	v_and_b32_e32 v43, 0xf0f0f0f, v212
	v_and_b32_e32 v214, 0x100000, v214
	;; [unrolled: 1-line block ×5, first 2 shown]
	v_or3_b32 v43, v182, v43, v214
	v_or3_b32 v185, v43, v183, v185
	v_cvt_f32_f16_e32 v182, v186
	v_cvt_f32_f16_sdwa v183, v186 dst_sel:DWORD dst_unused:UNUSED_PAD src0_sel:WORD_1
	v_ashrrev_i32_e32 v186, v203, v187
	v_lshrrev_b32_e32 v43, 4, v212
	v_lshlrev_b32_e32 v187, 4, v186
	v_lshlrev_b32_e32 v212, 11, v186
	;; [unrolled: 1-line block ×4, first 2 shown]
	v_and_b32_e32 v43, 0xf0f0f0f, v43
	v_and_b32_e32 v214, 0x100000, v214
	;; [unrolled: 1-line block ×5, first 2 shown]
	v_or3_b32 v43, v186, v43, v214
	s_waitcnt vmcnt(1)
	v_ashrrev_i32_e32 v186, v58, v217
	v_or3_b32 v215, v43, v187, v212
	v_lshlrev_b32_e32 v187, 4, v186
	v_lshlrev_b32_e32 v212, 11, v186
	;; [unrolled: 1-line block ×4, first 2 shown]
	v_and_b32_e32 v43, 0xf0f0f0f, v213
	v_and_b32_e32 v214, 0x100000, v214
	;; [unrolled: 1-line block ×5, first 2 shown]
	v_or3_b32 v43, v186, v43, v214
	v_or3_b32 v212, v43, v187, v212
	v_lshrrev_b32_e32 v43, 4, v213
	v_ashrrev_i32_e32 v213, v203, v217
	v_cvt_f32_f16_e32 v186, v216
	v_cvt_f32_f16_sdwa v187, v216 dst_sel:DWORD dst_unused:UNUSED_PAD src0_sel:WORD_1
	v_lshlrev_b32_e32 v214, 4, v213
	v_lshlrev_b32_e32 v216, 11, v213
	v_lshlrev_b32_e32 v217, 18, v213
	v_lshlrev_b32_e32 v213, 25, v213
	v_and_b32_e32 v43, 0xf0f0f0f, v43
	v_and_b32_e32 v217, 0x100000, v217
	;; [unrolled: 1-line block ×5, first 2 shown]
	v_or3_b32 v43, v213, v43, v217
	s_waitcnt vmcnt(0)
	v_ashrrev_i32_e32 v213, v58, v219
	v_or3_b32 v217, v43, v214, v216
	v_lshlrev_b32_e32 v214, 4, v213
	v_lshlrev_b32_e32 v216, 11, v213
	;; [unrolled: 1-line block ×4, first 2 shown]
	v_and_b32_e32 v43, 0xf0f0f0f, v220
	v_and_b32_e32 v221, 0x100000, v221
	;; [unrolled: 1-line block ×5, first 2 shown]
	v_or3_b32 v43, v213, v43, v221
	v_or3_b32 v216, v43, v214, v216
	v_cvt_f32_f16_e32 v213, v218
	v_cvt_f32_f16_sdwa v214, v218 dst_sel:DWORD dst_unused:UNUSED_PAD src0_sel:WORD_1
	v_ashrrev_i32_e32 v218, v203, v219
	v_lshrrev_b32_e32 v43, 4, v220
	v_lshlrev_b32_e32 v219, 4, v218
	v_lshlrev_b32_e32 v220, 11, v218
	;; [unrolled: 1-line block ×4, first 2 shown]
	v_and_b32_e32 v43, 0xf0f0f0f, v43
	v_and_b32_e32 v221, 0x100000, v221
	;; [unrolled: 1-line block ×5, first 2 shown]
	v_or3_b32 v43, v218, v43, v221
	v_or3_b32 v218, v43, v219, v220
	v_mov_b32_e32 v43, 0
	v_mov_b32_e32 v221, 0
	v_dot4c_i32_i8_e32 v43, v189, v60
	v_dot4c_i32_i8_e32 v221, v184, v61
	v_mul_f32_e32 v220, v1, v48
	v_mul_f32_e32 v219, v0, v49
	v_cvt_f32_i32_e32 v43, v43
	v_cvt_f32_i32_e32 v221, v221
	v_mul_f32_e32 v220, 0x3e000000, v220
	v_mov_b32_e32 v222, 0
	v_fma_f32 v43, v219, v43, v220
	v_fmac_f32_e32 v220, v219, v221
	v_mov_b32_e32 v219, 0
	v_dot4c_i32_i8_e32 v219, v93, v62
	v_dot4c_i32_i8_e32 v222, v55, v63
	v_add_f32_e32 v43, 0, v43
	v_mul_f32_e32 v221, v3, v46
	v_cvt_f32_i32_e32 v219, v219
	v_cvt_f32_i32_e32 v222, v222
	v_add_f32_e32 v43, v220, v43
	v_mul_f32_e32 v220, v2, v47
	v_mul_f32_e32 v221, 0x3e000000, v221
	v_fma_f32 v219, v220, v219, v221
	v_add_f32_e32 v43, v43, v219
	v_mov_b32_e32 v219, 0
	v_fmac_f32_e32 v221, v220, v222
	v_dot4c_i32_i8_e32 v219, v50, v64
	v_mov_b32_e32 v222, 0
	v_dot4c_i32_i8_e32 v222, v53, v65
	v_add_f32_e32 v43, v221, v43
	v_cvt_f32_i32_e32 v219, v219
	v_mul_f32_e32 v221, v5, v44
	v_cvt_f32_i32_e32 v222, v222
	v_mul_f32_e32 v220, v4, v45
	v_mul_f32_e32 v221, 0x3e000000, v221
	v_fma_f32 v219, v220, v219, v221
	v_add_f32_e32 v43, v43, v219
	v_fmac_f32_e32 v221, v220, v222
	v_mov_b32_e32 v219, 0
	v_mov_b32_e32 v220, 0
	v_dot4c_i32_i8_e32 v219, v54, v66
	v_dot4c_i32_i8_e32 v220, v180, v67
	v_add_f32_e32 v43, v221, v43
	v_mul_f32_e32 v222, v6, v51
	v_cvt_f32_i32_e32 v221, v219
	v_cvt_f32_i32_e32 v220, v220
	v_mul_f32_e32 v219, v7, v52
	v_mul_f32_e32 v224, 0x3e000000, v219
	v_mov_b32_e32 v219, 0
	v_pk_fma_f32 v[220:221], v[222:223], v[220:221], v[224:225] op_sel_hi:[0,1,0]
	v_add_f32_e32 v43, v43, v221
	v_add_f32_e32 v43, v220, v43
	v_mov_b32_e32 v220, 0
	v_dot4c_i32_i8_e32 v219, v181, v68
	v_dot4c_i32_i8_e32 v220, v188, v69
	v_mul_f32_e32 v222, v8, v34
	s_nop 0
	v_cvt_f32_i32_e32 v221, v219
	v_cvt_f32_i32_e32 v220, v220
	v_mul_f32_e32 v219, v9, v35
	v_mul_f32_e32 v224, 0x3e000000, v219
	v_mov_b32_e32 v219, 0
	v_pk_fma_f32 v[220:221], v[222:223], v[220:221], v[224:225] op_sel_hi:[0,1,0]
	v_add_f32_e32 v43, v43, v221
	v_add_f32_e32 v43, v220, v43
	v_mov_b32_e32 v220, 0
	v_dot4c_i32_i8_e32 v219, v185, v70
	v_dot4c_i32_i8_e32 v220, v215, v71
	v_mul_f32_e32 v222, v10, v182
	s_nop 0
	;; [unrolled: 13-line block ×4, first 2 shown]
	v_cvt_f32_i32_e32 v221, v219
	v_cvt_f32_i32_e32 v220, v220
	v_mul_f32_e32 v219, v15, v214
	v_mul_f32_e32 v224, 0x3e000000, v219
	v_pk_fma_f32 v[220:221], v[222:223], v[220:221], v[224:225] op_sel_hi:[0,1,0]
	v_add_f32_e32 v43, v43, v221
	v_add_f32_e32 v43, v220, v43
	ds_bpermute_b32 v219, v197, v43
	s_waitcnt lgkmcnt(0)
	v_add_f32_e32 v43, v43, v219
	ds_bpermute_b32 v219, v198, v43
	s_waitcnt lgkmcnt(0)
	v_add_f32_e32 v43, v43, v219
	v_cmp_nlt_f32_e64 s[30:31], |v43|, s51
                                        ; implicit-def: $vgpr219
	s_and_saveexec_b64 s[48:49], s[30:31]
	s_xor_b64 s[30:31], exec, s[48:49]
	s_cbranch_execz .LBB31_47
; %bb.46:                               ;   in Loop: Header=BB31_21 Depth=1
	v_add_f32_e64 v219, |v43|, |v43|
	v_mul_f32_e32 v220, 0x3fb8aa3b, v219
	v_rndne_f32_e32 v221, v220
	v_sub_f32_e32 v222, v220, v221
	v_fma_f32 v220, v219, s52, -v220
	v_fmac_f32_e32 v220, 0x32a5705f, v219
	v_add_f32_e32 v220, v222, v220
	v_cvt_i32_f32_e32 v221, v221
	v_exp_f32_e32 v220, v220
	v_cmp_ngt_f32_e32 vcc, s53, v219
	v_ldexp_f32 v220, v220, v221
	s_nop 0
	v_cndmask_b32_e32 v220, 0, v220, vcc
	v_cmp_nlt_f32_e32 vcc, s54, v219
	s_nop 1
	v_cndmask_b32_e32 v219, v210, v220, vcc
	v_add_f32_e32 v219, 1.0, v219
	v_rcp_f32_e32 v219, v219
	s_nop 0
	v_fma_f32 v219, v219, -2.0, 1.0
.LBB31_47:                              ;   in Loop: Header=BB31_21 Depth=1
	s_andn2_saveexec_b64 s[30:31], s[30:31]
; %bb.48:                               ;   in Loop: Header=BB31_21 Depth=1
	v_mul_f32_e32 v219, v43, v43
	v_fmamk_f32 v220, v219, 0xbbbac73d, v209
	v_fmaak_f32 v220, v219, v220, 0xbd5c1c4e
	v_fmaak_f32 v220, v219, v220, 0x3e088382
	;; [unrolled: 1-line block ×3, first 2 shown]
	v_mul_f32_e64 v220, |v43|, v220
	v_fma_f32 v219, v219, v220, |v43|
; %bb.49:                               ;   in Loop: Header=BB31_21 Depth=1
	s_or_b64 exec, exec, s[30:31]
	v_bfi_b32 v43, s55, v219, v43
	s_and_b64 vcc, exec, s[12:13]
	v_mul_f32_e32 v43, s39, v43
	s_cbranch_vccnz .LBB31_51
; %bb.50:                               ;   in Loop: Header=BB31_21 Depth=1
	global_load_ushort v219, v40, s[28:29] offset:4
	s_waitcnt vmcnt(0)
	v_fma_mix_f32 v43, v194, v219, v43 op_sel_hi:[0,1,0]
.LBB31_51:                              ;   in Loop: Header=BB31_21 Depth=1
	v_mov_b32_e32 v219, 0
	v_dot4c_i32_i8_e32 v219, v189, v76
	v_mul_f32_e32 v48, v17, v48
	v_mul_f32_e32 v49, v16, v49
	;; [unrolled: 1-line block ×3, first 2 shown]
	v_cvt_f32_i32_e32 v189, v219
	v_mov_b32_e32 v219, 0
	v_dot4c_i32_i8_e32 v219, v184, v77
	v_mul_f32_e32 v46, v19, v46
	v_fma_f32 v189, v49, v189, v48
	v_add_f32_e32 v189, 0, v189
	v_cvt_f32_i32_e32 v184, v219
	v_mul_f32_e32 v47, v18, v47
	v_mul_f32_e32 v46, 0x3e000000, v46
	;; [unrolled: 1-line block ×3, first 2 shown]
	v_fmac_f32_e32 v48, v49, v184
	v_mov_b32_e32 v49, 0
	v_dot4c_i32_i8_e32 v49, v93, v78
	v_mov_b32_e32 v93, 0
	v_dot4c_i32_i8_e32 v93, v55, v79
	v_add_f32_e32 v48, v48, v189
	v_cvt_f32_i32_e32 v49, v49
	v_mul_f32_e32 v45, v20, v45
	v_cvt_f32_i32_e32 v55, v93
	v_mul_f32_e32 v44, 0x3e000000, v44
	v_fma_f32 v49, v47, v49, v46
	v_add_f32_e32 v48, v48, v49
	v_fmac_f32_e32 v46, v47, v55
	v_mov_b32_e32 v47, 0
	v_add_f32_e32 v46, v46, v48
	v_dot4c_i32_i8_e32 v47, v50, v80
	v_mov_b32_e32 v48, 0
	v_dot4c_i32_i8_e32 v48, v53, v81
	v_mul_f32_e32 v35, v25, v35
	v_cvt_f32_i32_e32 v47, v47
	v_mul_f32_e32 v34, v24, v34
	v_cvt_f32_i32_e32 v48, v48
	v_fma_f32 v47, v45, v47, v44
	v_add_f32_e32 v46, v46, v47
	v_fmac_f32_e32 v44, v45, v48
	v_add_f32_e32 v47, v44, v46
	v_mov_b32_e32 v44, 0
	v_mov_b32_e32 v46, 0
	v_dot4c_i32_i8_e32 v44, v54, v82
	v_dot4c_i32_i8_e32 v46, v180, v83
	v_mul_f32_e32 v48, v23, v52
	v_mul_f32_e32 v48, 0x3e000000, v48
	v_cvt_f32_i32_e32 v45, v44
	v_cvt_f32_i32_e32 v44, v46
	v_mul_f32_e32 v46, v22, v51
	v_pk_fma_f32 v[44:45], v[46:47], v[44:45], v[48:49] op_sel_hi:[0,1,0]
	v_add_f32_e32 v45, v47, v45
	v_add_f32_e32 v47, v44, v45
	v_mov_b32_e32 v44, 0
	v_mov_b32_e32 v46, 0
	v_dot4c_i32_i8_e32 v44, v181, v84
	v_dot4c_i32_i8_e32 v46, v188, v85
	s_nop 1
	v_cvt_f32_i32_e32 v45, v44
	v_cvt_f32_i32_e32 v44, v46
	v_mul_f32_e32 v46, 0x3e000000, v35
	v_pk_fma_f32 v[34:35], v[34:35], v[44:45], v[46:47] op_sel_hi:[0,1,0]
	v_add_f32_e32 v35, v47, v35
	v_add_f32_e32 v45, v34, v35
	v_mov_b32_e32 v34, 0
	v_mov_b32_e32 v44, 0
	v_dot4c_i32_i8_e32 v34, v185, v86
	v_dot4c_i32_i8_e32 v44, v215, v87
	v_mul_f32_e32 v46, v27, v183
	v_mul_f32_e32 v46, 0x3e000000, v46
	v_cvt_f32_i32_e32 v35, v34
	v_cvt_f32_i32_e32 v34, v44
	v_mul_f32_e32 v44, v26, v182
	v_pk_fma_f32 v[34:35], v[44:45], v[34:35], v[46:47] op_sel_hi:[0,1,0]
	v_add_f32_e32 v35, v45, v35
	v_add_f32_e32 v45, v34, v35
	v_mov_b32_e32 v34, 0
	v_mov_b32_e32 v44, 0
	v_dot4c_i32_i8_e32 v34, v212, v88
	v_dot4c_i32_i8_e32 v44, v217, v89
	v_mul_f32_e32 v46, v29, v187
	v_mul_f32_e32 v46, 0x3e000000, v46
	v_cvt_f32_i32_e32 v35, v34
	v_cvt_f32_i32_e32 v34, v44
	v_mul_f32_e32 v44, v28, v186
	v_pk_fma_f32 v[34:35], v[44:45], v[34:35], v[46:47] op_sel_hi:[0,1,0]
	v_add_f32_e32 v35, v45, v35
	v_add_f32_e32 v45, v34, v35
	v_mov_b32_e32 v34, 0
	v_mov_b32_e32 v44, 0
	v_dot4c_i32_i8_e32 v34, v216, v90
	v_dot4c_i32_i8_e32 v44, v218, v91
	v_mul_f32_e32 v46, v31, v214
	v_mul_f32_e32 v46, 0x3e000000, v46
	v_cvt_f32_i32_e32 v35, v34
	v_cvt_f32_i32_e32 v34, v44
	v_mul_f32_e32 v44, v30, v213
	v_pk_fma_f32 v[34:35], v[44:45], v[34:35], v[46:47] op_sel_hi:[0,1,0]
	v_add_f32_e32 v35, v45, v35
	v_add_f32_e32 v34, v34, v35
	ds_bpermute_b32 v35, v197, v34
	s_waitcnt lgkmcnt(0)
	v_add_f32_e32 v34, v34, v35
	ds_bpermute_b32 v35, v198, v34
	s_waitcnt lgkmcnt(0)
	v_add_f32_e32 v34, v34, v35
	v_cmp_nlt_f32_e64 s[30:31], |v34|, s51
                                        ; implicit-def: $vgpr35
	s_and_saveexec_b64 s[48:49], s[30:31]
	s_xor_b64 s[30:31], exec, s[48:49]
	s_cbranch_execz .LBB31_53
; %bb.52:                               ;   in Loop: Header=BB31_21 Depth=1
	v_add_f32_e64 v35, |v34|, |v34|
	v_mul_f32_e32 v44, 0x3fb8aa3b, v35
	v_rndne_f32_e32 v45, v44
	v_sub_f32_e32 v46, v44, v45
	v_fma_f32 v44, v35, s52, -v44
	v_fmac_f32_e32 v44, 0x32a5705f, v35
	v_add_f32_e32 v44, v46, v44
	v_cvt_i32_f32_e32 v45, v45
	v_exp_f32_e32 v44, v44
	v_cmp_ngt_f32_e32 vcc, s53, v35
	v_ldexp_f32 v44, v44, v45
	s_nop 0
	v_cndmask_b32_e32 v44, 0, v44, vcc
	v_cmp_nlt_f32_e32 vcc, s54, v35
	s_nop 1
	v_cndmask_b32_e32 v35, v210, v44, vcc
	v_add_f32_e32 v35, 1.0, v35
	v_rcp_f32_e32 v35, v35
	s_nop 0
	v_fma_f32 v35, v35, -2.0, 1.0
.LBB31_53:                              ;   in Loop: Header=BB31_21 Depth=1
	s_andn2_saveexec_b64 s[30:31], s[30:31]
; %bb.54:                               ;   in Loop: Header=BB31_21 Depth=1
	v_mul_f32_e32 v35, v34, v34
	v_fmamk_f32 v44, v35, 0xbbbac73d, v209
	v_fmaak_f32 v44, v35, v44, 0xbd5c1c4e
	v_fmaak_f32 v44, v35, v44, 0x3e088382
	;; [unrolled: 1-line block ×3, first 2 shown]
	v_mul_f32_e64 v44, |v34|, v44
	v_fma_f32 v35, v35, v44, |v34|
; %bb.55:                               ;   in Loop: Header=BB31_21 Depth=1
	s_or_b64 exec, exec, s[30:31]
	v_bfi_b32 v34, s55, v35, v34
	s_and_b64 vcc, exec, s[14:15]
	v_mul_f32_e32 v44, s39, v34
	s_cbranch_vccnz .LBB31_57
; %bb.56:                               ;   in Loop: Header=BB31_21 Depth=1
	global_load_ushort v34, v[32:33], off offset:4
	s_waitcnt vmcnt(0)
	v_fma_mix_f32 v44, v194, v34, v44 op_sel_hi:[0,1,0]
.LBB31_57:                              ;   in Loop: Header=BB31_21 Depth=1
	v_lshl_add_u64 v[34:35], s[44:45], 0, v[102:103]
	global_load_dwordx2 v[46:47], v[34:35], off
	global_load_dwordx2 v[52:53], v[34:35], off offset:24
	global_load_dwordx2 v[54:55], v[34:35], off offset:48
	v_lshl_add_u64 v[48:49], v[34:35], 0, v[58:59]
	global_load_dword v51, v[48:49], off offset:8
	global_load_dword v93, v[48:49], off offset:32
	;; [unrolled: 1-line block ×3, first 2 shown]
	global_load_dwordx2 v[182:183], v[34:35], off offset:72
	global_load_dwordx2 v[186:187], v[34:35], off offset:96
	global_load_dwordx2 v[214:215], v[34:35], off offset:120
	global_load_dword v181, v[48:49], off offset:80
	global_load_dword v184, v[48:49], off offset:104
	;; [unrolled: 1-line block ×5, first 2 shown]
	s_waitcnt vmcnt(9)
	v_and_b32_e32 v223, 0xf0f0f0f, v93
	v_lshrrev_b32_e32 v93, 4, v93
	v_and_b32_e32 v93, 0xf0f0f0f, v93
	s_waitcnt vmcnt(8)
	v_and_b32_e32 v230, 0xf0f0f0f, v180
	v_lshrrev_b32_e32 v180, 4, v180
	v_ashrrev_i32_e32 v189, v203, v47
	v_ashrrev_i32_e32 v185, v58, v47
	v_cvt_f32_f16_e32 v50, v46
	v_cvt_f32_f16_sdwa v49, v46 dst_sel:DWORD dst_unused:UNUSED_PAD src0_sel:WORD_1
	v_cvt_f32_f16_e32 v46, v54
	v_cvt_f32_f16_sdwa v45, v54 dst_sel:DWORD dst_unused:UNUSED_PAD src0_sel:WORD_1
	v_and_b32_e32 v54, 0xf0f0f0f, v51
	v_lshrrev_b32_e32 v51, 4, v51
	v_lshlrev_b32_e32 v219, 4, v189
	v_lshlrev_b32_e32 v220, 11, v189
	;; [unrolled: 1-line block ×8, first 2 shown]
	v_and_b32_e32 v51, 0xf0f0f0f, v51
	v_and_b32_e32 v221, 0x100000, v221
	;; [unrolled: 1-line block ×7, first 2 shown]
	v_or3_b32 v51, v189, v51, v221
	v_or3_b32 v54, v185, v54, v218
	;; [unrolled: 1-line block ×3, first 2 shown]
	global_load_dwordx2 v[218:219], v[34:35], off offset:144
	global_load_dwordx2 v[220:221], v[34:35], off offset:168
	v_cvt_f32_f16_e32 v48, v52
	v_cvt_f32_f16_sdwa v47, v52 dst_sel:DWORD dst_unused:UNUSED_PAD src0_sel:WORD_1
	v_ashrrev_i32_e32 v52, v203, v53
	v_ashrrev_i32_e32 v212, v58, v53
	;; [unrolled: 1-line block ×3, first 2 shown]
	v_lshlrev_b32_e32 v227, 4, v52
	v_lshlrev_b32_e32 v228, 11, v52
	v_lshlrev_b32_e32 v229, 18, v52
	v_lshlrev_b32_e32 v52, 25, v52
	v_lshlrev_b32_e32 v231, 4, v53
	v_lshlrev_b32_e32 v232, 11, v53
	v_lshlrev_b32_e32 v233, 18, v53
	v_lshlrev_b32_e32 v53, 25, v53
	v_and_b32_e32 v229, 0x100000, v229
	v_and_b32_e32 v52, 0x10000000, v52
	v_lshlrev_b32_e32 v224, 4, v212
	v_lshlrev_b32_e32 v225, 11, v212
	;; [unrolled: 1-line block ×4, first 2 shown]
	v_and_b32_e32 v227, 16, v227
	v_and_b32_e32 v228, 0x1000, v228
	;; [unrolled: 1-line block ×4, first 2 shown]
	v_or3_b32 v52, v52, v93, v229
	v_and_b32_e32 v213, 16, v213
	v_and_b32_e32 v216, 0x1000, v216
	v_and_b32_e32 v226, 0x100000, v226
	v_and_b32_e32 v212, 0x10000000, v212
	v_and_b32_e32 v231, 16, v231
	v_and_b32_e32 v232, 0x1000, v232
	v_or3_b32 v53, v53, v230, v233
	v_or3_b32 v93, v52, v227, v228
	v_ashrrev_i32_e32 v52, v203, v55
	v_and_b32_e32 v234, 0xf0f0f0f, v180
	v_or3_b32 v180, v212, v223, v226
	v_or3_b32 v212, v54, v213, v216
	;; [unrolled: 1-line block ×3, first 2 shown]
	v_lshlrev_b32_e32 v53, 4, v52
	v_lshlrev_b32_e32 v54, 11, v52
	;; [unrolled: 1-line block ×4, first 2 shown]
	v_and_b32_e32 v55, 0x100000, v55
	v_and_b32_e32 v52, 0x10000000, v52
	;; [unrolled: 1-line block ×4, first 2 shown]
	v_or3_b32 v52, v52, v234, v55
	v_or3_b32 v54, v52, v53, v54
	s_waitcnt vmcnt(9)
	v_ashrrev_i32_e32 v53, v58, v183
	v_lshlrev_b32_e32 v55, 4, v53
	v_lshlrev_b32_e32 v189, 11, v53
	;; [unrolled: 1-line block ×4, first 2 shown]
	s_waitcnt vmcnt(6)
	v_and_b32_e32 v52, 0xf0f0f0f, v181
	v_and_b32_e32 v213, 0x100000, v213
	;; [unrolled: 1-line block ×5, first 2 shown]
	v_or3_b32 v52, v53, v52, v213
	v_or3_b32 v55, v52, v55, v189
	v_cvt_f32_f16_e32 v52, v182
	v_cvt_f32_f16_sdwa v53, v182 dst_sel:DWORD dst_unused:UNUSED_PAD src0_sel:WORD_1
	v_ashrrev_i32_e32 v182, v203, v183
	v_lshrrev_b32_e32 v181, 4, v181
	v_lshlrev_b32_e32 v183, 4, v182
	v_lshlrev_b32_e32 v189, 11, v182
	;; [unrolled: 1-line block ×4, first 2 shown]
	v_and_b32_e32 v181, 0xf0f0f0f, v181
	v_and_b32_e32 v213, 0x100000, v213
	;; [unrolled: 1-line block ×5, first 2 shown]
	v_or3_b32 v181, v182, v181, v213
	v_ashrrev_i32_e32 v34, v58, v187
	v_or3_b32 v181, v181, v183, v189
	v_lshlrev_b32_e32 v35, 4, v34
	v_lshlrev_b32_e32 v183, 11, v34
	v_lshlrev_b32_e32 v189, 18, v34
	v_lshlrev_b32_e32 v34, 25, v34
	s_waitcnt vmcnt(5)
	v_and_b32_e32 v182, 0xf0f0f0f, v184
	v_and_b32_e32 v189, 0x100000, v189
	;; [unrolled: 1-line block ×5, first 2 shown]
	v_or3_b32 v34, v34, v182, v189
	v_or3_b32 v182, v34, v35, v183
	v_lshrrev_b32_e32 v183, 4, v184
	v_ashrrev_i32_e32 v184, v203, v187
	v_cvt_f32_f16_e32 v34, v186
	v_cvt_f32_f16_sdwa v35, v186 dst_sel:DWORD dst_unused:UNUSED_PAD src0_sel:WORD_1
	v_lshlrev_b32_e32 v186, 4, v184
	v_lshlrev_b32_e32 v187, 11, v184
	;; [unrolled: 1-line block ×4, first 2 shown]
	v_and_b32_e32 v183, 0xf0f0f0f, v183
	v_and_b32_e32 v189, 0x100000, v189
	;; [unrolled: 1-line block ×5, first 2 shown]
	v_or3_b32 v183, v184, v183, v189
	v_ashrrev_i32_e32 v184, v58, v215
	v_or3_b32 v189, v183, v186, v187
	v_lshlrev_b32_e32 v186, 4, v184
	v_lshlrev_b32_e32 v187, 11, v184
	;; [unrolled: 1-line block ×4, first 2 shown]
	s_waitcnt vmcnt(4)
	v_and_b32_e32 v183, 0xf0f0f0f, v188
	v_and_b32_e32 v213, 0x100000, v213
	;; [unrolled: 1-line block ×5, first 2 shown]
	v_or3_b32 v183, v184, v183, v213
	v_or3_b32 v186, v183, v186, v187
	v_lshrrev_b32_e32 v187, 4, v188
	v_ashrrev_i32_e32 v188, v203, v215
	v_cvt_f32_f16_e32 v183, v214
	v_cvt_f32_f16_sdwa v184, v214 dst_sel:DWORD dst_unused:UNUSED_PAD src0_sel:WORD_1
	v_lshlrev_b32_e32 v213, 4, v188
	v_lshlrev_b32_e32 v214, 11, v188
	;; [unrolled: 1-line block ×4, first 2 shown]
	v_and_b32_e32 v187, 0xf0f0f0f, v187
	v_and_b32_e32 v215, 0x100000, v215
	;; [unrolled: 1-line block ×5, first 2 shown]
	v_or3_b32 v187, v188, v187, v215
	s_waitcnt vmcnt(1)
	v_ashrrev_i32_e32 v188, v58, v219
	v_or3_b32 v216, v187, v213, v214
	v_lshlrev_b32_e32 v213, 4, v188
	v_lshlrev_b32_e32 v214, 11, v188
	;; [unrolled: 1-line block ×4, first 2 shown]
	v_and_b32_e32 v187, 0xf0f0f0f, v217
	v_and_b32_e32 v215, 0x100000, v215
	;; [unrolled: 1-line block ×5, first 2 shown]
	v_or3_b32 v187, v188, v187, v215
	v_ashrrev_i32_e32 v215, v203, v219
	v_or3_b32 v213, v187, v213, v214
	v_cvt_f32_f16_e32 v187, v218
	v_cvt_f32_f16_sdwa v188, v218 dst_sel:DWORD dst_unused:UNUSED_PAD src0_sel:WORD_1
	v_lshrrev_b32_e32 v214, 4, v217
	v_lshlrev_b32_e32 v217, 4, v215
	v_lshlrev_b32_e32 v218, 11, v215
	;; [unrolled: 1-line block ×4, first 2 shown]
	v_and_b32_e32 v214, 0xf0f0f0f, v214
	v_and_b32_e32 v219, 0x100000, v219
	;; [unrolled: 1-line block ×5, first 2 shown]
	v_or3_b32 v214, v215, v214, v219
	s_waitcnt vmcnt(0)
	v_ashrrev_i32_e32 v215, v58, v221
	v_or3_b32 v218, v214, v217, v218
	v_lshlrev_b32_e32 v217, 4, v215
	v_lshlrev_b32_e32 v219, 11, v215
	;; [unrolled: 1-line block ×4, first 2 shown]
	v_and_b32_e32 v214, 0xf0f0f0f, v222
	v_and_b32_e32 v223, 0x100000, v223
	;; [unrolled: 1-line block ×5, first 2 shown]
	v_or3_b32 v214, v215, v214, v223
	v_or3_b32 v217, v214, v217, v219
	v_cvt_f32_f16_e32 v214, v220
	v_cvt_f32_f16_sdwa v215, v220 dst_sel:DWORD dst_unused:UNUSED_PAD src0_sel:WORD_1
	v_ashrrev_i32_e32 v220, v203, v221
	v_lshrrev_b32_e32 v219, 4, v222
	v_lshlrev_b32_e32 v221, 4, v220
	v_lshlrev_b32_e32 v222, 11, v220
	;; [unrolled: 1-line block ×4, first 2 shown]
	v_and_b32_e32 v219, 0xf0f0f0f, v219
	v_and_b32_e32 v223, 0x100000, v223
	;; [unrolled: 1-line block ×3, first 2 shown]
	v_or3_b32 v219, v220, v219, v223
	v_mov_b32_e32 v220, 0
	v_mov_b32_e32 v223, 0
	v_dot4c_i32_i8_e32 v220, v212, v60
	v_dot4c_i32_i8_e32 v223, v185, v61
	v_and_b32_e32 v221, 16, v221
	v_and_b32_e32 v222, 0x1000, v222
	v_cvt_f32_i32_e32 v220, v220
	v_cvt_f32_i32_e32 v223, v223
	v_or3_b32 v219, v219, v221, v222
	v_mul_f32_e32 v222, v1, v49
	v_and_b32_e32 v224, 16, v224
	v_and_b32_e32 v225, 0x1000, v225
	v_mul_f32_e32 v221, v0, v50
	v_mul_f32_e32 v222, 0x3e000000, v222
	v_or3_b32 v180, v180, v224, v225
	v_fma_f32 v220, v221, v220, v222
	v_fmac_f32_e32 v222, v221, v223
	v_mov_b32_e32 v221, 0
	v_dot4c_i32_i8_e32 v221, v180, v62
	v_mov_b32_e32 v224, 0
	v_dot4c_i32_i8_e32 v224, v93, v63
	v_add_f32_e32 v220, 0, v220
	v_cvt_f32_i32_e32 v221, v221
	v_mul_f32_e32 v223, v3, v47
	v_cvt_f32_i32_e32 v224, v224
	v_add_f32_e32 v220, v222, v220
	v_mul_f32_e32 v222, v2, v48
	v_mul_f32_e32 v223, 0x3e000000, v223
	v_fma_f32 v221, v222, v221, v223
	v_add_f32_e32 v220, v220, v221
	v_mov_b32_e32 v221, 0
	v_fmac_f32_e32 v223, v222, v224
	v_dot4c_i32_i8_e32 v221, v51, v64
	v_mov_b32_e32 v224, 0
	v_dot4c_i32_i8_e32 v224, v54, v65
	v_add_f32_e32 v220, v223, v220
	v_cvt_f32_i32_e32 v221, v221
	v_mul_f32_e32 v223, v5, v45
	v_cvt_f32_i32_e32 v224, v224
	v_mul_f32_e32 v222, v4, v46
	v_mul_f32_e32 v223, 0x3e000000, v223
	v_fma_f32 v221, v222, v221, v223
	v_add_f32_e32 v220, v220, v221
	v_fmac_f32_e32 v223, v222, v224
	v_add_f32_e32 v223, v223, v220
	v_mov_b32_e32 v220, 0
	v_mov_b32_e32 v222, 0
	v_dot4c_i32_i8_e32 v220, v55, v66
	v_dot4c_i32_i8_e32 v222, v181, v67
	v_mul_f32_e32 v224, v7, v53
	v_mul_f32_e32 v224, 0x3e000000, v224
	v_cvt_f32_i32_e32 v221, v220
	v_cvt_f32_i32_e32 v220, v222
	v_mul_f32_e32 v222, v6, v52
	v_pk_fma_f32 v[220:221], v[222:223], v[220:221], v[224:225] op_sel_hi:[0,1,0]
	v_add_f32_e32 v221, v223, v221
	v_add_f32_e32 v223, v220, v221
	v_mov_b32_e32 v220, 0
	v_mov_b32_e32 v222, 0
	v_dot4c_i32_i8_e32 v220, v182, v68
	v_dot4c_i32_i8_e32 v222, v189, v69
	v_mul_f32_e32 v224, v9, v35
	v_mul_f32_e32 v224, 0x3e000000, v224
	v_cvt_f32_i32_e32 v221, v220
	v_cvt_f32_i32_e32 v220, v222
	v_mul_f32_e32 v222, v8, v34
	v_pk_fma_f32 v[220:221], v[222:223], v[220:221], v[224:225] op_sel_hi:[0,1,0]
	v_add_f32_e32 v221, v223, v221
	;; [unrolled: 12-line block ×5, first 2 shown]
	v_add_f32_e32 v220, v220, v221
	ds_bpermute_b32 v221, v197, v220
	s_waitcnt lgkmcnt(0)
	v_add_f32_e32 v220, v220, v221
	ds_bpermute_b32 v221, v198, v220
	s_waitcnt lgkmcnt(0)
	v_add_f32_e32 v220, v220, v221
	v_cmp_nlt_f32_e64 s[30:31], |v220|, s51
                                        ; implicit-def: $vgpr221
	s_and_saveexec_b64 s[48:49], s[30:31]
	s_xor_b64 s[30:31], exec, s[48:49]
	s_cbranch_execz .LBB31_59
; %bb.58:                               ;   in Loop: Header=BB31_21 Depth=1
	v_add_f32_e64 v221, |v220|, |v220|
	v_mul_f32_e32 v222, 0x3fb8aa3b, v221
	v_rndne_f32_e32 v223, v222
	v_sub_f32_e32 v224, v222, v223
	v_fma_f32 v222, v221, s52, -v222
	v_fmac_f32_e32 v222, 0x32a5705f, v221
	v_add_f32_e32 v222, v224, v222
	v_cvt_i32_f32_e32 v223, v223
	v_exp_f32_e32 v222, v222
	v_cmp_ngt_f32_e32 vcc, s53, v221
	v_ldexp_f32 v222, v222, v223
	s_nop 0
	v_cndmask_b32_e32 v222, 0, v222, vcc
	v_cmp_nlt_f32_e32 vcc, s54, v221
	s_nop 1
	v_cndmask_b32_e32 v221, v210, v222, vcc
	v_add_f32_e32 v221, 1.0, v221
	v_rcp_f32_e32 v221, v221
	s_nop 0
	v_fma_f32 v221, v221, -2.0, 1.0
.LBB31_59:                              ;   in Loop: Header=BB31_21 Depth=1
	s_andn2_saveexec_b64 s[30:31], s[30:31]
; %bb.60:                               ;   in Loop: Header=BB31_21 Depth=1
	v_mul_f32_e32 v221, v220, v220
	v_fmamk_f32 v222, v221, 0xbbbac73d, v209
	v_fmaak_f32 v222, v221, v222, 0xbd5c1c4e
	v_fmaak_f32 v222, v221, v222, 0x3e088382
	;; [unrolled: 1-line block ×3, first 2 shown]
	v_mul_f32_e64 v222, |v220|, v222
	v_fma_f32 v221, v221, v222, |v220|
; %bb.61:                               ;   in Loop: Header=BB31_21 Depth=1
	s_or_b64 exec, exec, s[30:31]
	v_bfi_b32 v220, s55, v221, v220
	s_and_b64 vcc, exec, s[12:13]
	v_mul_f32_e32 v220, s39, v220
	s_cbranch_vccnz .LBB31_63
; %bb.62:                               ;   in Loop: Header=BB31_21 Depth=1
	global_load_ushort v40, v40, s[28:29] offset:6
	s_waitcnt vmcnt(0)
	v_fma_mix_f32 v220, v194, v40, v220 op_sel_hi:[0,1,0]
.LBB31_63:                              ;   in Loop: Header=BB31_21 Depth=1
	v_mov_b32_e32 v40, 0
	v_dot4c_i32_i8_e32 v40, v212, v76
	v_mov_b32_e32 v212, 0
	v_dot4c_i32_i8_e32 v212, v185, v77
	v_mul_f32_e32 v49, v17, v49
	v_cvt_f32_i32_e32 v40, v40
	v_mul_f32_e32 v50, v16, v50
	v_cvt_f32_i32_e32 v185, v212
	v_mul_f32_e32 v49, 0x3e000000, v49
	v_fma_f32 v40, v50, v40, v49
	v_add_f32_e32 v40, 0, v40
	v_fmac_f32_e32 v49, v50, v185
	v_add_f32_e32 v40, v49, v40
	v_mov_b32_e32 v49, 0
	v_dot4c_i32_i8_e32 v49, v180, v78
	v_mov_b32_e32 v50, 0
	v_dot4c_i32_i8_e32 v50, v93, v79
	v_mul_f32_e32 v47, v19, v47
	v_cvt_f32_i32_e32 v49, v49
	v_mul_f32_e32 v48, v18, v48
	v_cvt_f32_i32_e32 v50, v50
	v_mul_f32_e32 v47, 0x3e000000, v47
	v_fma_f32 v49, v48, v49, v47
	v_add_f32_e32 v40, v40, v49
	v_fmac_f32_e32 v47, v48, v50
	v_add_f32_e32 v40, v47, v40
	;; [unrolled: 13-line block ×3, first 2 shown]
	v_mov_b32_e32 v40, 0
	v_mov_b32_e32 v46, 0
	v_dot4c_i32_i8_e32 v40, v55, v82
	v_dot4c_i32_i8_e32 v46, v181, v83
	v_mul_f32_e32 v48, v23, v53
	v_mul_f32_e32 v48, 0x3e000000, v48
	v_cvt_f32_i32_e32 v47, v40
	v_cvt_f32_i32_e32 v46, v46
	v_mul_f32_e32 v40, v22, v52
	v_mul_f32_e32 v35, v25, v35
	v_mul_f32_e32 v34, v24, v34
	v_pk_fma_f32 v[46:47], v[40:41], v[46:47], v[48:49] op_sel_hi:[0,1,0]
	v_add_f32_e32 v40, v45, v47
	v_add_f32_e32 v45, v46, v40
	v_mov_b32_e32 v40, 0
	v_mov_b32_e32 v46, 0
	v_dot4c_i32_i8_e32 v40, v182, v84
	v_dot4c_i32_i8_e32 v46, v189, v85
	s_nop 1
	v_cvt_f32_i32_e32 v47, v40
	v_cvt_f32_i32_e32 v46, v46
	v_mul_f32_e32 v40, 0x3e000000, v35
	v_pk_fma_f32 v[34:35], v[34:35], v[46:47], v[40:41] op_sel_hi:[0,1,0]
	v_add_f32_e32 v35, v45, v35
	v_add_f32_e32 v45, v34, v35
	v_mov_b32_e32 v34, 0
	v_mov_b32_e32 v40, 0
	v_dot4c_i32_i8_e32 v34, v186, v86
	v_dot4c_i32_i8_e32 v40, v216, v87
	v_mul_f32_e32 v46, v27, v184
	v_mul_f32_e32 v46, 0x3e000000, v46
	v_cvt_f32_i32_e32 v35, v34
	v_cvt_f32_i32_e32 v34, v40
	v_mul_f32_e32 v40, v26, v183
	v_pk_fma_f32 v[34:35], v[40:41], v[34:35], v[46:47] op_sel_hi:[0,1,0]
	v_add_f32_e32 v35, v45, v35
	v_add_f32_e32 v45, v34, v35
	v_mov_b32_e32 v34, 0
	v_mov_b32_e32 v40, 0
	v_dot4c_i32_i8_e32 v34, v213, v88
	v_dot4c_i32_i8_e32 v40, v218, v89
	v_mul_f32_e32 v46, v29, v188
	v_mul_f32_e32 v46, 0x3e000000, v46
	;; [unrolled: 12-line block ×3, first 2 shown]
	v_cvt_f32_i32_e32 v35, v34
	v_cvt_f32_i32_e32 v34, v40
	v_mul_f32_e32 v40, v30, v214
	v_pk_fma_f32 v[34:35], v[40:41], v[34:35], v[46:47] op_sel_hi:[0,1,0]
	v_add_f32_e32 v35, v45, v35
	v_add_f32_e32 v34, v34, v35
	ds_bpermute_b32 v35, v197, v34
	s_waitcnt lgkmcnt(0)
	v_add_f32_e32 v34, v34, v35
	ds_bpermute_b32 v35, v198, v34
	s_waitcnt lgkmcnt(0)
	v_add_f32_e32 v34, v34, v35
	v_cmp_nlt_f32_e64 s[12:13], |v34|, s51
                                        ; implicit-def: $vgpr35
	s_and_saveexec_b64 s[30:31], s[12:13]
	s_xor_b64 s[12:13], exec, s[30:31]
	s_cbranch_execz .LBB31_65
; %bb.64:                               ;   in Loop: Header=BB31_21 Depth=1
	v_add_f32_e64 v35, |v34|, |v34|
	v_mul_f32_e32 v40, 0x3fb8aa3b, v35
	v_rndne_f32_e32 v45, v40
	v_sub_f32_e32 v46, v40, v45
	v_fma_f32 v40, v35, s52, -v40
	v_fmac_f32_e32 v40, 0x32a5705f, v35
	v_add_f32_e32 v40, v46, v40
	v_cvt_i32_f32_e32 v45, v45
	v_exp_f32_e32 v40, v40
	v_cmp_ngt_f32_e32 vcc, s53, v35
	v_ldexp_f32 v40, v40, v45
	s_nop 0
	v_cndmask_b32_e32 v40, 0, v40, vcc
	v_cmp_nlt_f32_e32 vcc, s54, v35
	s_nop 1
	v_cndmask_b32_e32 v35, v210, v40, vcc
	v_add_f32_e32 v35, 1.0, v35
	v_rcp_f32_e32 v35, v35
	s_nop 0
	v_fma_f32 v35, v35, -2.0, 1.0
.LBB31_65:                              ;   in Loop: Header=BB31_21 Depth=1
	s_andn2_saveexec_b64 s[12:13], s[12:13]
; %bb.66:                               ;   in Loop: Header=BB31_21 Depth=1
	v_mul_f32_e32 v35, v34, v34
	v_fmamk_f32 v40, v35, 0xbbbac73d, v209
	v_fmaak_f32 v40, v35, v40, 0xbd5c1c4e
	v_fmaak_f32 v40, v35, v40, 0x3e088382
	;; [unrolled: 1-line block ×3, first 2 shown]
	v_mul_f32_e64 v40, |v34|, v40
	v_fma_f32 v35, v35, v40, |v34|
; %bb.67:                               ;   in Loop: Header=BB31_21 Depth=1
	s_or_b64 exec, exec, s[12:13]
	v_bfi_b32 v34, s55, v35, v34
	s_and_b64 vcc, exec, s[14:15]
	v_mul_f32_e32 v34, s39, v34
	s_cbranch_vccnz .LBB31_69
; %bb.68:                               ;   in Loop: Header=BB31_21 Depth=1
	global_load_ushort v32, v[32:33], off offset:6
	s_waitcnt vmcnt(0)
	v_fma_mix_f32 v34, v194, v32, v34 op_sel_hi:[0,1,0]
.LBB31_69:                              ;   in Loop: Header=BB31_21 Depth=1
	v_add_f32_e32 v32, 0x40051340, v38
	v_add_f32_e32 v33, 0x40051340, v41
	v_max3_f32 v32, v37, v32, v33
	v_add_f32_e32 v33, 0x40051340, v43
	v_add_f32_e32 v35, 0x40051340, v220
	v_max3_f32 v32, v32, v33, v35
	ds_bpermute_b32 v33, v199, v32
	v_cndmask_b32_e64 v35, v178, v38, s[16:17]
	v_cndmask_b32_e64 v38, v179, v39, s[16:17]
	;; [unrolled: 1-line block ×3, first 2 shown]
	v_add_f32_e32 v40, 0x40051340, v42
	s_waitcnt lgkmcnt(0)
	v_max_f32_e32 v33, v33, v33
	v_max_f32_e32 v32, v32, v33
	ds_bpermute_b32 v33, v200, v32
	v_cndmask_b32_e64 v35, v35, v41, s[6:7]
	v_cndmask_b32_e64 v35, v35, v43, s[8:9]
	;; [unrolled: 1-line block ×3, first 2 shown]
	v_add_f32_e32 v39, 0x40051340, v39
	s_waitcnt lgkmcnt(0)
	v_max_f32_e32 v33, v33, v33
	v_max_f32_e32 v32, v32, v33
	ds_bpermute_b32 v33, v201, v32
	v_max3_f32 v39, v36, v39, v40
	v_add_f32_e32 v40, 0x40051340, v44
	v_add_f32_e32 v41, 0x40051340, v34
	v_cndmask_b32_e64 v44, v38, v34, s[10:11]
	s_waitcnt lgkmcnt(0)
	v_max_f32_e32 v33, v33, v33
	v_max_f32_e32 v180, v32, v33
	v_sub_f32_e32 v32, v37, v180
	v_mul_f32_e32 v33, 0x3fb8aa3b, v32
	v_fma_f32 v37, v32, s52, -v33
	v_rndne_f32_e32 v42, v33
	v_fmac_f32_e32 v37, 0x32a5705f, v32
	v_sub_f32_e32 v33, v33, v42
	v_add_f32_e32 v33, v33, v37
	v_exp_f32_e32 v33, v33
	v_cvt_i32_f32_e32 v37, v42
	v_cndmask_b32_e64 v34, v35, v220, s[10:11]
	v_cmp_ngt_f32_e32 vcc, s53, v32
	v_max3_f32 v39, v39, v40, v41
	v_ldexp_f32 v33, v33, v37
	v_sub_f32_e32 v37, v34, v180
	v_cndmask_b32_e32 v33, 0, v33, vcc
	v_cmp_nlt_f32_e32 vcc, s54, v32
	v_mul_f32_e32 v32, 0x3fb8aa3b, v37
	v_rndne_f32_e32 v34, v32
	v_cndmask_b32_e32 v38, v210, v33, vcc
	v_fma_f32 v33, v37, s52, -v32
	v_fmac_f32_e32 v33, 0x32a5705f, v37
	v_sub_f32_e32 v32, v32, v34
	ds_bpermute_b32 v47, v199, v39
	v_add_f32_e32 v32, v32, v33
	v_exp_f32_e32 v45, v32
	v_lshl_add_u64 v[32:33], s[42:43], 0, v[104:105]
	v_cvt_i32_f32_e32 v46, v34
	v_mad_u64_u32 v[34:35], s[12:13], v174, 24, v[32:33]
	v_lshl_add_u64 v[40:41], v[34:35], 0, v[106:107]
	v_mad_u64_u32 v[32:33], s[12:13], v172, 24, v[32:33]
	v_lshl_add_u64 v[42:43], v[32:33], 0, v[108:109]
	global_load_dword v184, v[40:41], off offset:8
	global_load_dword v93, v[42:43], off offset:8
	global_load_dwordx2 v[48:49], v[32:33], off
	global_load_dwordx2 v[50:51], v[34:35], off
	s_waitcnt lgkmcnt(0)
	v_max_f32_e32 v33, v47, v47
	v_max_f32_e32 v33, v39, v33
	ds_bpermute_b32 v34, v200, v33
	v_ldexp_f32 v32, v45, v46
	v_cmp_ngt_f32_e32 vcc, s53, v37
	v_cvt_f16_f32_e32 v35, v38
	s_add_i32 s22, s40, s22
	s_waitcnt lgkmcnt(0)
	v_max_f32_e32 v34, v34, v34
	v_cndmask_b32_e32 v32, 0, v32, vcc
	v_cmp_nlt_f32_e32 vcc, s54, v37
	v_max_f32_e32 v37, v33, v34
	ds_bpermute_b32 v39, v201, v37
	v_cndmask_b32_e32 v178, v210, v32, vcc
	v_cvt_f16_f32_e32 v32, v178
	v_mul_u32_u24_e32 v40, 0x10001, v35
	s_add_u32 s44, s44, s4
	s_waitcnt lgkmcnt(0)
	v_max_f32_e32 v39, v39, v39
	v_max_f32_e32 v181, v37, v39
	v_sub_f32_e32 v36, v36, v181
	v_mul_f32_e32 v37, 0x3fb8aa3b, v36
	ds_write_b16 v193, v32
	v_fma_f32 v39, v36, s52, -v37
	v_rndne_f32_e32 v41, v37
	ds_read_b128 v[32:35], v195
	ds_read_b128 v[212:215], v195 offset:16
	v_fmac_f32_e32 v39, 0x32a5705f, v36
	v_sub_f32_e32 v37, v37, v41
	v_add_f32_e32 v37, v37, v39
	v_exp_f32_e32 v37, v37
	v_cvt_i32_f32_e32 v39, v41
	s_waitcnt lgkmcnt(1)
	v_pk_mul_f16 v185, v33, v40
	v_sub_f32_e32 v33, v44, v181
	v_pk_mul_f16 v182, v34, v40
	v_mul_f32_e32 v34, 0x3fb8aa3b, v33
	v_pk_mul_f16 v186, v32, v40
	v_ldexp_f32 v32, v37, v39
	v_fma_f32 v37, v33, s52, -v34
	v_rndne_f32_e32 v39, v34
	v_fmac_f32_e32 v37, 0x32a5705f, v33
	v_sub_f32_e32 v34, v34, v39
	v_add_f32_e32 v34, v34, v37
	v_exp_f32_e32 v34, v34
	v_cvt_i32_f32_e32 v37, v39
	v_cmp_ngt_f32_e32 vcc, s53, v36
	v_pk_mul_f16 v183, v35, v40
	s_addc_u32 s45, s45, 0
	v_cndmask_b32_e32 v32, 0, v32, vcc
	v_cmp_nlt_f32_e32 vcc, s54, v36
	s_waitcnt vmcnt(3)
	v_ashrrev_i32_e32 v184, v205, v184
	v_cndmask_b32_e32 v39, v210, v32, vcc
	v_ldexp_f32 v32, v34, v37
	v_cmp_ngt_f32_e32 vcc, s53, v33
	s_waitcnt vmcnt(0)
	v_lshrrev_b32_e32 v217, v204, v51
	v_and_b32_e32 v184, 0xf0f0f0f, v184
	v_cndmask_b32_e32 v32, 0, v32, vcc
	v_cmp_nlt_f32_e32 vcc, s54, v33
	v_cvt_f16_f32_e32 v33, v39
	v_lshlrev_b32_e32 v217, 4, v217
	v_cndmask_b32_e32 v179, v210, v32, vcc
	v_cvt_f16_f32_e32 v32, v179
	v_mul_u32_u24_e32 v216, 0x10001, v33
	v_pk_fma_f32 v[56:57], v[56:57], v[38:39], v[178:179]
	s_waitcnt lgkmcnt(0)
	v_pk_mul_f16 v188, v212, v216
	ds_write_b16 v193, v32 offset:256
	v_lshl_add_u64 v[32:33], s[42:43], 0, v[110:111]
	v_mad_u64_u32 v[34:35], s[12:13], v174, 24, v[32:33]
	v_lshl_add_u64 v[36:37], v[34:35], 0, v[106:107]
	v_mad_u64_u32 v[32:33], s[12:13], v172, 24, v[32:33]
	v_lshl_add_u64 v[38:39], v[32:33], 0, v[108:109]
	global_load_dword v212, v[36:37], off offset:8
	global_load_dword v189, v[38:39], off offset:8
	global_load_dwordx2 v[52:53], v[32:33], off
	global_load_dwordx2 v[54:55], v[34:35], off
	v_and_or_b32 v184, v217, 16, v184
	v_lshrrev_b32_e32 v217, v206, v51
	v_lshrrev_b32_e32 v218, v207, v51
	;; [unrolled: 1-line block ×3, first 2 shown]
	v_lshlrev_b32_e32 v217, 12, v217
	v_lshlrev_b32_e32 v218, 20, v218
	;; [unrolled: 1-line block ×3, first 2 shown]
	v_and_or_b32 v217, v217, s38, v184
	v_and_b32_e32 v218, 0x100000, v218
	v_and_b32_e32 v51, 0x10000000, v51
	v_or3_b32 v51, v218, v51, v217
	v_lshrrev_b32_e32 v217, 8, v217
	ds_read_b128 v[40:43], v202
	ds_read_b128 v[32:35], v202 offset:16
	ds_read_b128 v[44:47], v202 offset:256
	;; [unrolled: 1-line block ×3, first 2 shown]
	v_and_b32_e32 v184, 31, v184
	v_and_b32_e32 v217, 31, v217
	v_cvt_f16_u16_e32 v184, v184
	v_cvt_f16_u16_e32 v217, v217
	v_pack_b32_f16 v184, v184, v217
	v_and_b32_sdwa v217, v51, v211 dst_sel:DWORD dst_unused:UNUSED_PAD src0_sel:WORD_1 src1_sel:DWORD
	v_cvt_f16_u16_sdwa v51, v51 dst_sel:DWORD dst_unused:UNUSED_PAD src0_sel:BYTE_3
	v_cvt_f16_u16_e32 v217, v217
	v_mul_u32_u24_sdwa v218, v50, s56 dst_sel:DWORD dst_unused:UNUSED_PAD src0_sel:WORD_0 src1_sel:DWORD
	v_mul_u32_u24_sdwa v50, v50, s56 dst_sel:DWORD dst_unused:UNUSED_PAD src0_sel:WORD_1 src1_sel:DWORD
	v_pack_b32_f16 v51, v217, v51
	v_pk_mul_f16 v187, v213, v216
	v_pk_mul_f16 v213, v214, v216
	;; [unrolled: 1-line block ×3, first 2 shown]
	s_waitcnt lgkmcnt(3)
	v_mul_u32_u24_sdwa v215, v40, s56 dst_sel:DWORD dst_unused:UNUSED_PAD src0_sel:WORD_0 src1_sel:DWORD
	s_waitcnt lgkmcnt(1)
	v_mul_u32_u24_sdwa v216, v44, s56 dst_sel:DWORD dst_unused:UNUSED_PAD src0_sel:WORD_0 src1_sel:DWORD
	v_pk_fma_f16 v184, v184, v218, v50
	v_pk_fma_f16 v50, v51, v218, v50
	;; [unrolled: 1-line block ×6, first 2 shown]
	v_ashrrev_i32_e32 v50, v205, v93
	v_lshrrev_b32_e32 v51, v204, v49
	v_and_b32_e32 v50, 0xf0f0f0f, v50
	v_lshlrev_b32_e32 v51, 4, v51
	v_and_or_b32 v50, v51, 16, v50
	v_lshrrev_b32_e32 v51, v206, v49
	v_lshrrev_b32_e32 v93, v207, v49
	;; [unrolled: 1-line block ×3, first 2 shown]
	v_lshlrev_b32_e32 v51, 12, v51
	v_lshlrev_b32_e32 v93, 20, v93
	;; [unrolled: 1-line block ×3, first 2 shown]
	v_and_or_b32 v51, v51, s38, v50
	v_and_b32_e32 v93, 0x100000, v93
	v_and_b32_e32 v49, 0x10000000, v49
	v_or3_b32 v49, v93, v49, v51
	v_lshrrev_b32_e32 v51, 8, v51
	v_and_b32_e32 v50, 31, v50
	v_and_b32_e32 v51, 31, v51
	v_cvt_f16_u16_e32 v50, v50
	v_cvt_f16_u16_e32 v51, v51
	v_pack_b32_f16 v50, v50, v51
	v_and_b32_sdwa v51, v49, v211 dst_sel:DWORD dst_unused:UNUSED_PAD src0_sel:WORD_1 src1_sel:DWORD
	v_cvt_f16_u16_sdwa v49, v49 dst_sel:DWORD dst_unused:UNUSED_PAD src0_sel:BYTE_3
	v_cvt_f16_u16_e32 v51, v51
	v_mul_u32_u24_sdwa v93, v48, s56 dst_sel:DWORD dst_unused:UNUSED_PAD src0_sel:WORD_0 src1_sel:DWORD
	v_mul_u32_u24_sdwa v48, v48, s56 dst_sel:DWORD dst_unused:UNUSED_PAD src0_sel:WORD_1 src1_sel:DWORD
	v_pack_b32_f16 v49, v51, v49
	v_pk_fma_f16 v50, v50, v93, v48
	v_pk_fma_f16 v48, v49, v93, v48
	;; [unrolled: 1-line block ×6, first 2 shown]
	ds_write_b128 v195, v[184:187] offset:16
	v_mul_u32_u24_sdwa v40, v40, s56 dst_sel:DWORD dst_unused:UNUSED_PAD src0_sel:WORD_1 src1_sel:DWORD
	v_mul_u32_u24_sdwa v44, v44, s56 dst_sel:DWORD dst_unused:UNUSED_PAD src0_sel:WORD_1 src1_sel:DWORD
	s_waitcnt vmcnt(3)
	v_ashrrev_i32_e32 v48, v205, v212
	v_and_b32_e32 v216, 0xf0f0f0f, v48
	s_waitcnt vmcnt(0)
	v_lshrrev_b32_e32 v48, v204, v55
	v_lshlrev_b32_e32 v219, 4, v48
	v_lshl_add_u64 v[48:49], s[42:43], 0, v[112:113]
	v_mad_u64_u32 v[50:51], s[12:13], v174, 24, v[48:49]
	v_mad_u64_u32 v[48:49], s[12:13], v172, 24, v[48:49]
	v_lshl_add_u64 v[182:183], v[50:51], 0, v[106:107]
	v_lshl_add_u64 v[212:213], v[48:49], 0, v[108:109]
	global_load_dword v220, v[182:183], off offset:8
	global_load_dword v221, v[212:213], off offset:8
	s_nop 0
	global_load_dwordx2 v[212:213], v[48:49], off
	global_load_dwordx2 v[214:215], v[50:51], off
	v_lshrrev_b32_e32 v49, v206, v55
	v_lshrrev_b32_e32 v50, v207, v55
	;; [unrolled: 1-line block ×3, first 2 shown]
	v_and_or_b32 v48, v219, 16, v216
	v_lshlrev_b32_e32 v49, 12, v49
	v_lshlrev_b32_e32 v50, 20, v50
	;; [unrolled: 1-line block ×3, first 2 shown]
	v_and_or_b32 v49, v49, s38, v48
	v_and_b32_e32 v50, 0x100000, v50
	v_and_b32_e32 v51, 0x10000000, v51
	v_or3_b32 v50, v50, v51, v49
	v_lshrrev_b32_e32 v49, 8, v49
	v_and_b32_e32 v48, 31, v48
	v_and_b32_e32 v49, 31, v49
	v_cvt_f16_u16_e32 v48, v48
	v_cvt_f16_u16_e32 v49, v49
	v_mul_u32_u24_sdwa v51, v54, s56 dst_sel:DWORD dst_unused:UNUSED_PAD src0_sel:WORD_0 src1_sel:DWORD
	v_mul_u32_u24_sdwa v54, v54, s56 dst_sel:DWORD dst_unused:UNUSED_PAD src0_sel:WORD_1 src1_sel:DWORD
	v_pack_b32_f16 v48, v48, v49
	v_pk_fma_f16 v49, v48, v51, v54
	v_and_b32_sdwa v48, v50, v211 dst_sel:DWORD dst_unused:UNUSED_PAD src0_sel:WORD_1 src1_sel:DWORD
	v_cvt_f16_u16_sdwa v50, v50 dst_sel:DWORD dst_unused:UNUSED_PAD src0_sel:BYTE_3
	v_cvt_f16_u16_e32 v48, v48
	v_pack_b32_f16 v48, v48, v50
	v_pk_fma_f16 v50, v48, v51, v54
	v_pk_fma_f16 v48, v49, v40, v217
	;; [unrolled: 1-line block ×5, first 2 shown]
	v_ashrrev_i32_e32 v50, v205, v189
	v_lshrrev_b32_e32 v51, v204, v53
	v_and_b32_e32 v50, 0xf0f0f0f, v50
	v_lshlrev_b32_e32 v51, 4, v51
	v_and_or_b32 v50, v51, 16, v50
	v_lshrrev_b32_e32 v51, v206, v53
	v_lshrrev_b32_e32 v54, v207, v53
	;; [unrolled: 1-line block ×3, first 2 shown]
	v_lshlrev_b32_e32 v51, 12, v51
	v_lshlrev_b32_e32 v54, 20, v54
	;; [unrolled: 1-line block ×3, first 2 shown]
	v_and_or_b32 v51, v51, s38, v50
	v_and_b32_e32 v54, 0x100000, v54
	v_and_b32_e32 v53, 0x10000000, v53
	v_or3_b32 v53, v54, v53, v51
	v_lshrrev_b32_e32 v51, 8, v51
	v_and_b32_e32 v50, 31, v50
	v_and_b32_e32 v51, 31, v51
	v_cvt_f16_u16_e32 v50, v50
	v_cvt_f16_u16_e32 v51, v51
	v_mul_u32_u24_sdwa v54, v52, s56 dst_sel:DWORD dst_unused:UNUSED_PAD src0_sel:WORD_0 src1_sel:DWORD
	v_mul_u32_u24_sdwa v52, v52, s56 dst_sel:DWORD dst_unused:UNUSED_PAD src0_sel:WORD_1 src1_sel:DWORD
	v_pack_b32_f16 v50, v50, v51
	v_pk_fma_f16 v51, v50, v54, v52
	v_and_b32_sdwa v50, v53, v211 dst_sel:DWORD dst_unused:UNUSED_PAD src0_sel:WORD_1 src1_sel:DWORD
	v_cvt_f16_u16_sdwa v53, v53 dst_sel:DWORD dst_unused:UNUSED_PAD src0_sel:BYTE_3
	v_cvt_f16_u16_e32 v50, v50
	v_pack_b32_f16 v50, v50, v53
	v_pk_fma_f16 v219, v50, v54, v52
	v_lshl_add_u64 v[52:53], s[42:43], 0, v[114:115]
	v_mad_u64_u32 v[54:55], s[12:13], v174, 24, v[52:53]
	v_mad_u64_u32 v[52:53], s[12:13], v172, 24, v[52:53]
	v_lshl_add_u64 v[184:185], v[54:55], 0, v[106:107]
	v_lshl_add_u64 v[188:189], v[52:53], 0, v[108:109]
	v_pk_fma_f16 v50, v51, v40, v93
	global_load_dword v93, v[184:185], off offset:8
	global_load_dword v222, v[188:189], off offset:8
	s_nop 0
	global_load_dwordx2 v[188:189], v[52:53], off
	global_load_dwordx2 v[216:217], v[54:55], off
	v_pk_fma_f16 v184, v51, v44, v186
	v_pk_fma_f16 v51, v219, v40, v218
	v_pk_fma_f16 v185, v219, v44, v187
	v_mul_u32_u24_sdwa v40, v41, s56 dst_sel:DWORD dst_unused:UNUSED_PAD src0_sel:WORD_0 src1_sel:DWORD
	v_mul_u32_u24_sdwa v44, v45, s56 dst_sel:DWORD dst_unused:UNUSED_PAD src0_sel:WORD_0 src1_sel:DWORD
	ds_write_b128 v195, v[48:51]
	ds_write_b128 v195, v[182:185] offset:16
	s_waitcnt vmcnt(7)
	v_ashrrev_i32_e32 v52, v205, v220
	v_and_b32_e32 v52, 0xf0f0f0f, v52
	s_waitcnt vmcnt(4)
	v_lshrrev_b32_e32 v53, v204, v215
	v_lshlrev_b32_e32 v53, 4, v53
	v_and_or_b32 v52, v53, 16, v52
	v_lshrrev_b32_e32 v53, v206, v215
	v_lshrrev_b32_e32 v54, v207, v215
	;; [unrolled: 1-line block ×3, first 2 shown]
	v_lshlrev_b32_e32 v53, 12, v53
	v_lshlrev_b32_e32 v54, 20, v54
	;; [unrolled: 1-line block ×3, first 2 shown]
	v_and_or_b32 v53, v53, s38, v52
	v_and_b32_e32 v54, 0x100000, v54
	v_and_b32_e32 v55, 0x10000000, v55
	v_or3_b32 v54, v54, v55, v53
	v_lshrrev_b32_e32 v53, 8, v53
	v_and_b32_e32 v52, 31, v52
	v_and_b32_e32 v53, 31, v53
	v_cvt_f16_u16_e32 v52, v52
	v_cvt_f16_u16_e32 v53, v53
	v_pack_b32_f16 v52, v52, v53
	v_and_b32_sdwa v53, v54, v211 dst_sel:DWORD dst_unused:UNUSED_PAD src0_sel:WORD_1 src1_sel:DWORD
	v_cvt_f16_u16_sdwa v54, v54 dst_sel:DWORD dst_unused:UNUSED_PAD src0_sel:BYTE_3
	v_cvt_f16_u16_e32 v53, v53
	v_mul_u32_u24_sdwa v55, v214, s56 dst_sel:DWORD dst_unused:UNUSED_PAD src0_sel:WORD_0 src1_sel:DWORD
	v_mul_u32_u24_sdwa v186, v214, s56 dst_sel:DWORD dst_unused:UNUSED_PAD src0_sel:WORD_1 src1_sel:DWORD
	v_pack_b32_f16 v53, v53, v54
	v_pk_fma_f16 v52, v52, v55, v186
	v_pk_fma_f16 v53, v53, v55, v186
	v_ashrrev_i32_e32 v54, v205, v221
	v_lshrrev_b32_e32 v55, v204, v213
	v_and_b32_e32 v54, 0xf0f0f0f, v54
	v_lshlrev_b32_e32 v55, 4, v55
	v_pk_fma_f16 v48, v52, v40, v48
	v_pk_fma_f16 v52, v52, v44, v182
	v_pk_fma_f16 v49, v53, v40, v49
	v_pk_fma_f16 v53, v53, v44, v183
	v_and_or_b32 v54, v55, 16, v54
	v_lshrrev_b32_e32 v55, v206, v213
	v_lshrrev_b32_e32 v182, v207, v213
	;; [unrolled: 1-line block ×3, first 2 shown]
	v_lshlrev_b32_e32 v55, 12, v55
	v_lshlrev_b32_e32 v182, 20, v182
	;; [unrolled: 1-line block ×3, first 2 shown]
	v_and_or_b32 v55, v55, s38, v54
	v_and_b32_e32 v182, 0x100000, v182
	v_and_b32_e32 v183, 0x10000000, v183
	v_or3_b32 v182, v182, v183, v55
	v_lshrrev_b32_e32 v55, 8, v55
	v_and_b32_e32 v54, 31, v54
	v_and_b32_e32 v55, 31, v55
	v_cvt_f16_u16_e32 v54, v54
	v_cvt_f16_u16_e32 v55, v55
	v_pack_b32_f16 v54, v54, v55
	v_and_b32_sdwa v55, v182, v211 dst_sel:DWORD dst_unused:UNUSED_PAD src0_sel:WORD_1 src1_sel:DWORD
	v_cvt_f16_u16_sdwa v182, v182 dst_sel:DWORD dst_unused:UNUSED_PAD src0_sel:BYTE_3
	v_cvt_f16_u16_e32 v55, v55
	v_mul_u32_u24_sdwa v183, v212, s56 dst_sel:DWORD dst_unused:UNUSED_PAD src0_sel:WORD_0 src1_sel:DWORD
	v_mul_u32_u24_sdwa v186, v212, s56 dst_sel:DWORD dst_unused:UNUSED_PAD src0_sel:WORD_1 src1_sel:DWORD
	v_pack_b32_f16 v55, v55, v182
	v_pk_fma_f16 v54, v54, v183, v186
	v_pk_fma_f16 v55, v55, v183, v186
	;; [unrolled: 1-line block ×4, first 2 shown]
	v_mul_u32_u24_sdwa v212, v41, s56 dst_sel:DWORD dst_unused:UNUSED_PAD src0_sel:WORD_1 src1_sel:DWORD
	v_pk_fma_f16 v54, v54, v44, v184
	s_waitcnt vmcnt(3)
	v_ashrrev_i32_e32 v40, v205, v93
	v_and_b32_e32 v93, 0xf0f0f0f, v40
	v_pk_fma_f16 v55, v55, v44, v185
	s_waitcnt vmcnt(0)
	v_lshrrev_b32_e32 v40, v204, v217
	v_lshlrev_b32_e32 v186, 4, v40
	v_lshl_add_u64 v[40:41], s[42:43], 0, v[116:117]
	v_mul_u32_u24_sdwa v213, v45, s56 dst_sel:DWORD dst_unused:UNUSED_PAD src0_sel:WORD_1 src1_sel:DWORD
	v_mad_u64_u32 v[44:45], s[12:13], v174, 24, v[40:41]
	ds_write_b128 v195, v[48:51]
	ds_write_b128 v195, v[52:55] offset:16
	v_lshl_add_u64 v[182:183], v[44:45], 0, v[106:107]
	v_mad_u64_u32 v[40:41], s[12:13], v172, 24, v[40:41]
	v_lshl_add_u64 v[184:185], v[40:41], 0, v[108:109]
	global_load_dword v214, v[182:183], off offset:8
	global_load_dword v215, v[184:185], off offset:8
	s_nop 0
	global_load_dwordx2 v[40:41], v[40:41], off
	s_nop 0
	global_load_dwordx2 v[44:45], v[44:45], off
	v_lshrrev_b32_e32 v182, v206, v217
	v_lshrrev_b32_e32 v183, v207, v217
	;; [unrolled: 1-line block ×3, first 2 shown]
	v_and_or_b32 v93, v186, 16, v93
	v_lshlrev_b32_e32 v182, 12, v182
	v_lshlrev_b32_e32 v183, 20, v183
	;; [unrolled: 1-line block ×3, first 2 shown]
	v_and_or_b32 v182, v182, s38, v93
	v_and_b32_e32 v183, 0x100000, v183
	v_and_b32_e32 v184, 0x10000000, v184
	v_or3_b32 v183, v183, v184, v182
	v_lshrrev_b32_e32 v182, 8, v182
	v_and_b32_e32 v93, 31, v93
	v_and_b32_e32 v182, 31, v182
	v_cvt_f16_u16_e32 v93, v93
	v_cvt_f16_u16_e32 v182, v182
	v_pack_b32_f16 v93, v93, v182
	v_and_b32_sdwa v182, v183, v211 dst_sel:DWORD dst_unused:UNUSED_PAD src0_sel:WORD_1 src1_sel:DWORD
	v_cvt_f16_u16_sdwa v183, v183 dst_sel:DWORD dst_unused:UNUSED_PAD src0_sel:BYTE_3
	v_cvt_f16_u16_e32 v182, v182
	v_mul_u32_u24_sdwa v184, v216, s56 dst_sel:DWORD dst_unused:UNUSED_PAD src0_sel:WORD_0 src1_sel:DWORD
	v_mul_u32_u24_sdwa v185, v216, s56 dst_sel:DWORD dst_unused:UNUSED_PAD src0_sel:WORD_1 src1_sel:DWORD
	v_pack_b32_f16 v182, v182, v183
	v_pk_fma_f16 v93, v93, v184, v185
	v_pk_fma_f16 v182, v182, v184, v185
	;; [unrolled: 1-line block ×6, first 2 shown]
	v_ashrrev_i32_e32 v93, v205, v222
	v_lshrrev_b32_e32 v182, v204, v189
	v_and_b32_e32 v93, 0xf0f0f0f, v93
	v_lshlrev_b32_e32 v182, 4, v182
	v_and_or_b32 v93, v182, 16, v93
	v_lshrrev_b32_e32 v182, v206, v189
	v_lshrrev_b32_e32 v183, v207, v189
	;; [unrolled: 1-line block ×3, first 2 shown]
	v_lshlrev_b32_e32 v182, 12, v182
	v_lshlrev_b32_e32 v183, 20, v183
	;; [unrolled: 1-line block ×3, first 2 shown]
	v_and_or_b32 v182, v182, s38, v93
	v_and_b32_e32 v183, 0x100000, v183
	v_and_b32_e32 v184, 0x10000000, v184
	v_or3_b32 v183, v183, v184, v182
	v_lshrrev_b32_e32 v182, 8, v182
	v_and_b32_e32 v93, 31, v93
	v_and_b32_e32 v182, 31, v182
	v_cvt_f16_u16_e32 v93, v93
	v_cvt_f16_u16_e32 v182, v182
	v_pack_b32_f16 v93, v93, v182
	v_and_b32_sdwa v182, v183, v211 dst_sel:DWORD dst_unused:UNUSED_PAD src0_sel:WORD_1 src1_sel:DWORD
	v_cvt_f16_u16_sdwa v183, v183 dst_sel:DWORD dst_unused:UNUSED_PAD src0_sel:BYTE_3
	v_cvt_f16_u16_e32 v182, v182
	v_mul_u32_u24_sdwa v184, v188, s56 dst_sel:DWORD dst_unused:UNUSED_PAD src0_sel:WORD_0 src1_sel:DWORD
	v_mul_u32_u24_sdwa v185, v188, s56 dst_sel:DWORD dst_unused:UNUSED_PAD src0_sel:WORD_1 src1_sel:DWORD
	v_pack_b32_f16 v182, v182, v183
	v_pk_fma_f16 v216, v182, v184, v185
	v_lshl_add_u64 v[182:183], s[42:43], 0, v[118:119]
	v_pk_fma_f16 v93, v93, v184, v185
	v_mad_u64_u32 v[184:185], s[12:13], v174, 24, v[182:183]
	v_lshl_add_u64 v[186:187], v[184:185], 0, v[106:107]
	v_mad_u64_u32 v[182:183], s[12:13], v172, 24, v[182:183]
	v_lshl_add_u64 v[188:189], v[182:183], 0, v[108:109]
	global_load_dword v186, v[186:187], off offset:8
	s_nop 0
	global_load_dword v217, v[188:189], off offset:8
	s_nop 0
	global_load_dwordx2 v[182:183], v[182:183], off
	s_nop 0
	global_load_dwordx2 v[184:185], v[184:185], off
	v_pk_fma_f16 v50, v93, v212, v50
	v_pk_fma_f16 v51, v216, v212, v51
	;; [unrolled: 1-line block ×4, first 2 shown]
	v_mul_u32_u24_sdwa v93, v42, s56 dst_sel:DWORD dst_unused:UNUSED_PAD src0_sel:WORD_0 src1_sel:DWORD
	v_mul_u32_u24_sdwa v187, v46, s56 dst_sel:DWORD dst_unused:UNUSED_PAD src0_sel:WORD_0 src1_sel:DWORD
	ds_write_b128 v195, v[48:51]
	ds_write_b128 v195, v[52:55] offset:16
	v_mul_u32_u24_sdwa v42, v42, s56 dst_sel:DWORD dst_unused:UNUSED_PAD src0_sel:WORD_1 src1_sel:DWORD
	v_mul_u32_u24_sdwa v46, v46, s56 dst_sel:DWORD dst_unused:UNUSED_PAD src0_sel:WORD_1 src1_sel:DWORD
	s_waitcnt vmcnt(7)
	v_ashrrev_i32_e32 v188, v205, v214
	v_and_b32_e32 v188, 0xf0f0f0f, v188
	s_waitcnt vmcnt(4)
	v_lshrrev_b32_e32 v189, v204, v45
	v_lshlrev_b32_e32 v189, 4, v189
	v_and_or_b32 v188, v189, 16, v188
	v_lshrrev_b32_e32 v189, v206, v45
	v_lshrrev_b32_e32 v212, v207, v45
	;; [unrolled: 1-line block ×3, first 2 shown]
	v_lshlrev_b32_e32 v189, 12, v189
	v_lshlrev_b32_e32 v212, 20, v212
	;; [unrolled: 1-line block ×3, first 2 shown]
	v_and_or_b32 v189, v189, s38, v188
	v_and_b32_e32 v212, 0x100000, v212
	v_and_b32_e32 v45, 0x10000000, v45
	v_or3_b32 v45, v212, v45, v189
	v_lshrrev_b32_e32 v189, 8, v189
	v_and_b32_e32 v188, 31, v188
	v_and_b32_e32 v189, 31, v189
	v_cvt_f16_u16_e32 v188, v188
	v_cvt_f16_u16_e32 v189, v189
	v_pack_b32_f16 v188, v188, v189
	v_and_b32_sdwa v189, v45, v211 dst_sel:DWORD dst_unused:UNUSED_PAD src0_sel:WORD_1 src1_sel:DWORD
	v_cvt_f16_u16_sdwa v45, v45 dst_sel:DWORD dst_unused:UNUSED_PAD src0_sel:BYTE_3
	v_cvt_f16_u16_e32 v189, v189
	v_mul_u32_u24_sdwa v212, v44, s56 dst_sel:DWORD dst_unused:UNUSED_PAD src0_sel:WORD_0 src1_sel:DWORD
	v_mul_u32_u24_sdwa v44, v44, s56 dst_sel:DWORD dst_unused:UNUSED_PAD src0_sel:WORD_1 src1_sel:DWORD
	v_pack_b32_f16 v45, v189, v45
	v_pk_fma_f16 v188, v188, v212, v44
	v_pk_fma_f16 v44, v45, v212, v44
	v_lshrrev_b32_e32 v45, v204, v41
	v_pk_fma_f16 v49, v44, v93, v49
	v_pk_fma_f16 v53, v44, v187, v53
	v_ashrrev_i32_e32 v44, v205, v215
	v_and_b32_e32 v44, 0xf0f0f0f, v44
	v_lshlrev_b32_e32 v45, 4, v45
	v_pk_fma_f16 v48, v188, v93, v48
	v_pk_fma_f16 v52, v188, v187, v52
	v_and_or_b32 v44, v45, 16, v44
	v_lshrrev_b32_e32 v45, v206, v41
	v_lshrrev_b32_e32 v188, v207, v41
	;; [unrolled: 1-line block ×3, first 2 shown]
	v_lshlrev_b32_e32 v45, 12, v45
	v_lshlrev_b32_e32 v188, 20, v188
	;; [unrolled: 1-line block ×3, first 2 shown]
	v_and_or_b32 v45, v45, s38, v44
	v_and_b32_e32 v188, 0x100000, v188
	v_and_b32_e32 v41, 0x10000000, v41
	v_or3_b32 v41, v188, v41, v45
	v_lshrrev_b32_e32 v45, 8, v45
	v_and_b32_e32 v44, 31, v44
	v_and_b32_e32 v45, 31, v45
	v_cvt_f16_u16_e32 v44, v44
	v_cvt_f16_u16_e32 v45, v45
	v_pack_b32_f16 v44, v44, v45
	v_and_b32_sdwa v45, v41, v211 dst_sel:DWORD dst_unused:UNUSED_PAD src0_sel:WORD_1 src1_sel:DWORD
	v_cvt_f16_u16_sdwa v41, v41 dst_sel:DWORD dst_unused:UNUSED_PAD src0_sel:BYTE_3
	v_cvt_f16_u16_e32 v45, v45
	v_mul_u32_u24_sdwa v188, v40, s56 dst_sel:DWORD dst_unused:UNUSED_PAD src0_sel:WORD_0 src1_sel:DWORD
	v_mul_u32_u24_sdwa v40, v40, s56 dst_sel:DWORD dst_unused:UNUSED_PAD src0_sel:WORD_1 src1_sel:DWORD
	v_pack_b32_f16 v41, v45, v41
	v_pk_fma_f16 v44, v44, v188, v40
	v_pk_fma_f16 v40, v41, v188, v40
	;; [unrolled: 1-line block ×5, first 2 shown]
	s_waitcnt vmcnt(3)
	v_ashrrev_i32_e32 v40, v205, v186
	v_and_b32_e32 v93, 0xf0f0f0f, v40
	v_pk_fma_f16 v54, v44, v187, v54
	s_waitcnt vmcnt(0)
	v_lshrrev_b32_e32 v40, v204, v185
	v_lshlrev_b32_e32 v212, 4, v40
	v_lshl_add_u64 v[40:41], s[42:43], 0, v[120:121]
	v_mad_u64_u32 v[44:45], s[12:13], v174, 24, v[40:41]
	ds_write_b128 v195, v[48:51]
	ds_write_b128 v195, v[52:55] offset:16
	v_lshl_add_u64 v[186:187], v[44:45], 0, v[106:107]
	v_mad_u64_u32 v[40:41], s[12:13], v172, 24, v[40:41]
	v_lshl_add_u64 v[188:189], v[40:41], 0, v[108:109]
	global_load_dword v213, v[186:187], off offset:8
	global_load_dword v214, v[188:189], off offset:8
	s_nop 0
	global_load_dwordx2 v[40:41], v[40:41], off
	s_nop 0
	global_load_dwordx2 v[44:45], v[44:45], off
	v_lshrrev_b32_e32 v186, v206, v185
	v_lshrrev_b32_e32 v187, v207, v185
	v_lshrrev_b32_e32 v185, v208, v185
	v_and_or_b32 v93, v212, 16, v93
	v_lshlrev_b32_e32 v186, 12, v186
	v_lshlrev_b32_e32 v187, 20, v187
	;; [unrolled: 1-line block ×3, first 2 shown]
	v_and_or_b32 v186, v186, s38, v93
	v_and_b32_e32 v187, 0x100000, v187
	v_and_b32_e32 v185, 0x10000000, v185
	v_or3_b32 v185, v187, v185, v186
	v_lshrrev_b32_e32 v186, 8, v186
	v_and_b32_e32 v93, 31, v93
	v_and_b32_e32 v186, 31, v186
	v_cvt_f16_u16_e32 v93, v93
	v_cvt_f16_u16_e32 v186, v186
	v_pack_b32_f16 v93, v93, v186
	v_and_b32_sdwa v186, v185, v211 dst_sel:DWORD dst_unused:UNUSED_PAD src0_sel:WORD_1 src1_sel:DWORD
	v_cvt_f16_u16_sdwa v185, v185 dst_sel:DWORD dst_unused:UNUSED_PAD src0_sel:BYTE_3
	v_cvt_f16_u16_e32 v186, v186
	v_mul_u32_u24_sdwa v187, v184, s56 dst_sel:DWORD dst_unused:UNUSED_PAD src0_sel:WORD_0 src1_sel:DWORD
	v_mul_u32_u24_sdwa v184, v184, s56 dst_sel:DWORD dst_unused:UNUSED_PAD src0_sel:WORD_1 src1_sel:DWORD
	v_pack_b32_f16 v185, v186, v185
	v_pk_fma_f16 v93, v93, v187, v184
	v_pk_fma_f16 v184, v185, v187, v184
	v_pk_fma_f16 v48, v93, v42, v48
	v_pk_fma_f16 v52, v93, v46, v52
	v_pk_fma_f16 v49, v184, v42, v49
	v_pk_fma_f16 v53, v184, v46, v53
	v_ashrrev_i32_e32 v93, v205, v217
	v_lshrrev_b32_e32 v184, v204, v183
	v_and_b32_e32 v93, 0xf0f0f0f, v93
	v_lshlrev_b32_e32 v184, 4, v184
	v_and_or_b32 v93, v184, 16, v93
	v_lshrrev_b32_e32 v184, v206, v183
	v_lshrrev_b32_e32 v185, v207, v183
	;; [unrolled: 1-line block ×3, first 2 shown]
	v_lshlrev_b32_e32 v184, 12, v184
	v_lshlrev_b32_e32 v185, 20, v185
	v_lshlrev_b32_e32 v183, 28, v183
	v_and_or_b32 v184, v184, s38, v93
	v_and_b32_e32 v185, 0x100000, v185
	v_and_b32_e32 v183, 0x10000000, v183
	v_or3_b32 v183, v185, v183, v184
	v_lshrrev_b32_e32 v184, 8, v184
	v_and_b32_e32 v93, 31, v93
	v_and_b32_e32 v184, 31, v184
	v_cvt_f16_u16_e32 v93, v93
	v_cvt_f16_u16_e32 v184, v184
	v_pack_b32_f16 v93, v93, v184
	v_and_b32_sdwa v184, v183, v211 dst_sel:DWORD dst_unused:UNUSED_PAD src0_sel:WORD_1 src1_sel:DWORD
	v_cvt_f16_u16_sdwa v183, v183 dst_sel:DWORD dst_unused:UNUSED_PAD src0_sel:BYTE_3
	v_cvt_f16_u16_e32 v184, v184
	v_mul_u32_u24_sdwa v185, v182, s56 dst_sel:DWORD dst_unused:UNUSED_PAD src0_sel:WORD_0 src1_sel:DWORD
	v_mul_u32_u24_sdwa v182, v182, s56 dst_sel:DWORD dst_unused:UNUSED_PAD src0_sel:WORD_1 src1_sel:DWORD
	v_pack_b32_f16 v183, v184, v183
	v_pk_fma_f16 v93, v93, v185, v182
	v_pk_fma_f16 v212, v183, v185, v182
	v_lshl_add_u64 v[182:183], s[42:43], 0, v[122:123]
	v_mad_u64_u32 v[184:185], s[12:13], v174, 24, v[182:183]
	v_mad_u64_u32 v[182:183], s[12:13], v172, 24, v[182:183]
	v_lshl_add_u64 v[186:187], v[184:185], 0, v[106:107]
	v_lshl_add_u64 v[188:189], v[182:183], 0, v[108:109]
	global_load_dword v186, v[186:187], off offset:8
	s_nop 0
	global_load_dword v188, v[188:189], off offset:8
	s_nop 0
	global_load_dwordx2 v[182:183], v[182:183], off
	s_nop 0
	global_load_dwordx2 v[184:185], v[184:185], off
	v_pk_fma_f16 v50, v93, v42, v50
	v_pk_fma_f16 v54, v93, v46, v54
	;; [unrolled: 1-line block ×4, first 2 shown]
	v_mul_u32_u24_sdwa v42, v43, s56 dst_sel:DWORD dst_unused:UNUSED_PAD src0_sel:WORD_0 src1_sel:DWORD
	v_mul_u32_u24_sdwa v46, v47, s56 dst_sel:DWORD dst_unused:UNUSED_PAD src0_sel:WORD_0 src1_sel:DWORD
	ds_write_b128 v195, v[48:51]
	ds_write_b128 v195, v[52:55] offset:16
	s_waitcnt vmcnt(7)
	v_ashrrev_i32_e32 v93, v205, v213
	v_and_b32_e32 v93, 0xf0f0f0f, v93
	s_waitcnt vmcnt(4)
	v_lshrrev_b32_e32 v187, v204, v45
	v_lshlrev_b32_e32 v187, 4, v187
	v_and_or_b32 v93, v187, 16, v93
	v_lshrrev_b32_e32 v187, v206, v45
	v_lshrrev_b32_e32 v189, v207, v45
	;; [unrolled: 1-line block ×3, first 2 shown]
	v_lshlrev_b32_e32 v187, 12, v187
	v_lshlrev_b32_e32 v189, 20, v189
	;; [unrolled: 1-line block ×3, first 2 shown]
	v_and_or_b32 v187, v187, s38, v93
	v_and_b32_e32 v189, 0x100000, v189
	v_and_b32_e32 v45, 0x10000000, v45
	v_or3_b32 v45, v189, v45, v187
	v_lshrrev_b32_e32 v187, 8, v187
	v_and_b32_e32 v93, 31, v93
	v_and_b32_e32 v187, 31, v187
	v_cvt_f16_u16_e32 v93, v93
	v_cvt_f16_u16_e32 v187, v187
	v_pack_b32_f16 v93, v93, v187
	v_and_b32_sdwa v187, v45, v211 dst_sel:DWORD dst_unused:UNUSED_PAD src0_sel:WORD_1 src1_sel:DWORD
	v_cvt_f16_u16_sdwa v45, v45 dst_sel:DWORD dst_unused:UNUSED_PAD src0_sel:BYTE_3
	v_cvt_f16_u16_e32 v187, v187
	v_mul_u32_u24_sdwa v189, v44, s56 dst_sel:DWORD dst_unused:UNUSED_PAD src0_sel:WORD_0 src1_sel:DWORD
	v_mul_u32_u24_sdwa v44, v44, s56 dst_sel:DWORD dst_unused:UNUSED_PAD src0_sel:WORD_1 src1_sel:DWORD
	v_pack_b32_f16 v45, v187, v45
	v_pk_fma_f16 v93, v93, v189, v44
	v_pk_fma_f16 v44, v45, v189, v44
	v_lshrrev_b32_e32 v45, v204, v41
	v_pk_fma_f16 v49, v44, v42, v49
	v_pk_fma_f16 v53, v44, v46, v53
	v_ashrrev_i32_e32 v44, v205, v214
	v_and_b32_e32 v44, 0xf0f0f0f, v44
	v_lshlrev_b32_e32 v45, 4, v45
	v_pk_fma_f16 v48, v93, v42, v48
	v_pk_fma_f16 v52, v93, v46, v52
	v_and_or_b32 v44, v45, 16, v44
	v_lshrrev_b32_e32 v45, v206, v41
	v_lshrrev_b32_e32 v93, v207, v41
	;; [unrolled: 1-line block ×3, first 2 shown]
	v_lshlrev_b32_e32 v45, 12, v45
	v_lshlrev_b32_e32 v93, 20, v93
	v_lshlrev_b32_e32 v41, 28, v41
	v_and_or_b32 v45, v45, s38, v44
	v_and_b32_e32 v93, 0x100000, v93
	v_and_b32_e32 v41, 0x10000000, v41
	v_or3_b32 v41, v93, v41, v45
	v_lshrrev_b32_e32 v45, 8, v45
	v_and_b32_e32 v44, 31, v44
	v_and_b32_e32 v45, 31, v45
	v_cvt_f16_u16_e32 v44, v44
	v_cvt_f16_u16_e32 v45, v45
	v_pack_b32_f16 v44, v44, v45
	v_and_b32_sdwa v45, v41, v211 dst_sel:DWORD dst_unused:UNUSED_PAD src0_sel:WORD_1 src1_sel:DWORD
	v_cvt_f16_u16_sdwa v41, v41 dst_sel:DWORD dst_unused:UNUSED_PAD src0_sel:BYTE_3
	v_cvt_f16_u16_e32 v45, v45
	v_mul_u32_u24_sdwa v93, v40, s56 dst_sel:DWORD dst_unused:UNUSED_PAD src0_sel:WORD_0 src1_sel:DWORD
	v_mul_u32_u24_sdwa v40, v40, s56 dst_sel:DWORD dst_unused:UNUSED_PAD src0_sel:WORD_1 src1_sel:DWORD
	v_pack_b32_f16 v41, v45, v41
	v_pk_fma_f16 v44, v44, v93, v40
	v_pk_fma_f16 v40, v41, v93, v40
	;; [unrolled: 1-line block ×5, first 2 shown]
	s_waitcnt vmcnt(3)
	v_ashrrev_i32_e32 v40, v205, v186
	v_and_b32_e32 v212, 0xf0f0f0f, v40
	v_pk_fma_f16 v54, v44, v46, v54
	s_waitcnt vmcnt(0)
	v_lshrrev_b32_e32 v40, v204, v185
	v_lshlrev_b32_e32 v213, 4, v40
	v_lshl_add_u64 v[40:41], s[42:43], 0, v[124:125]
	v_mul_u32_u24_sdwa v93, v43, s56 dst_sel:DWORD dst_unused:UNUSED_PAD src0_sel:WORD_1 src1_sel:DWORD
	v_mad_u64_u32 v[42:43], s[12:13], v174, 24, v[40:41]
	ds_write_b128 v195, v[48:51]
	ds_write_b128 v195, v[52:55] offset:16
	v_lshl_add_u64 v[44:45], v[42:43], 0, v[106:107]
	v_mad_u64_u32 v[40:41], s[12:13], v172, 24, v[40:41]
	v_mul_u32_u24_sdwa v189, v47, s56 dst_sel:DWORD dst_unused:UNUSED_PAD src0_sel:WORD_1 src1_sel:DWORD
	v_lshl_add_u64 v[46:47], v[40:41], 0, v[108:109]
	global_load_dword v214, v[44:45], off offset:8
	global_load_dword v215, v[46:47], off offset:8
	global_load_dwordx2 v[186:187], v[40:41], off
	s_nop 0
	global_load_dwordx2 v[44:45], v[42:43], off
	v_lshrrev_b32_e32 v41, v206, v185
	v_lshrrev_b32_e32 v42, v207, v185
	;; [unrolled: 1-line block ×3, first 2 shown]
	v_and_or_b32 v40, v213, 16, v212
	v_lshlrev_b32_e32 v41, 12, v41
	v_lshlrev_b32_e32 v42, 20, v42
	;; [unrolled: 1-line block ×3, first 2 shown]
	v_and_or_b32 v41, v41, s38, v40
	v_and_b32_e32 v42, 0x100000, v42
	v_and_b32_e32 v43, 0x10000000, v43
	v_or3_b32 v42, v42, v43, v41
	v_lshrrev_b32_e32 v41, 8, v41
	v_and_b32_e32 v40, 31, v40
	v_and_b32_e32 v41, 31, v41
	v_cvt_f16_u16_e32 v40, v40
	v_cvt_f16_u16_e32 v41, v41
	v_mul_u32_u24_sdwa v43, v184, s56 dst_sel:DWORD dst_unused:UNUSED_PAD src0_sel:WORD_0 src1_sel:DWORD
	v_mul_u32_u24_sdwa v46, v184, s56 dst_sel:DWORD dst_unused:UNUSED_PAD src0_sel:WORD_1 src1_sel:DWORD
	v_pack_b32_f16 v40, v40, v41
	v_pk_fma_f16 v41, v40, v43, v46
	v_and_b32_sdwa v40, v42, v211 dst_sel:DWORD dst_unused:UNUSED_PAD src0_sel:WORD_1 src1_sel:DWORD
	v_cvt_f16_u16_sdwa v42, v42 dst_sel:DWORD dst_unused:UNUSED_PAD src0_sel:BYTE_3
	v_cvt_f16_u16_e32 v40, v40
	v_pack_b32_f16 v40, v40, v42
	v_pk_fma_f16 v42, v40, v43, v46
	v_pk_fma_f16 v40, v41, v93, v48
	;; [unrolled: 1-line block ×5, first 2 shown]
	v_ashrrev_i32_e32 v42, v205, v188
	v_lshrrev_b32_e32 v43, v204, v183
	v_and_b32_e32 v42, 0xf0f0f0f, v42
	v_lshlrev_b32_e32 v43, 4, v43
	v_and_or_b32 v42, v43, 16, v42
	v_lshrrev_b32_e32 v43, v206, v183
	v_lshrrev_b32_e32 v48, v207, v183
	;; [unrolled: 1-line block ×3, first 2 shown]
	v_lshlrev_b32_e32 v43, 12, v43
	v_lshlrev_b32_e32 v48, 20, v48
	;; [unrolled: 1-line block ×3, first 2 shown]
	v_and_or_b32 v43, v43, s38, v42
	v_and_b32_e32 v48, 0x100000, v48
	v_and_b32_e32 v49, 0x10000000, v49
	v_or3_b32 v48, v48, v49, v43
	v_lshrrev_b32_e32 v43, 8, v43
	v_and_b32_e32 v42, 31, v42
	v_and_b32_e32 v43, 31, v43
	v_cvt_f16_u16_e32 v42, v42
	v_cvt_f16_u16_e32 v43, v43
	v_mul_u32_u24_sdwa v49, v182, s56 dst_sel:DWORD dst_unused:UNUSED_PAD src0_sel:WORD_0 src1_sel:DWORD
	v_mul_u32_u24_sdwa v52, v182, s56 dst_sel:DWORD dst_unused:UNUSED_PAD src0_sel:WORD_1 src1_sel:DWORD
	v_pack_b32_f16 v42, v42, v43
	v_pk_fma_f16 v43, v42, v49, v52
	v_and_b32_sdwa v42, v48, v211 dst_sel:DWORD dst_unused:UNUSED_PAD src0_sel:WORD_1 src1_sel:DWORD
	v_cvt_f16_u16_sdwa v48, v48 dst_sel:DWORD dst_unused:UNUSED_PAD src0_sel:BYTE_3
	v_cvt_f16_u16_e32 v42, v42
	v_pack_b32_f16 v42, v42, v48
	v_pk_fma_f16 v188, v42, v49, v52
	v_lshl_add_u64 v[48:49], s[42:43], 0, v[126:127]
	v_mad_u64_u32 v[52:53], s[12:13], v174, 24, v[48:49]
	v_lshl_add_u64 v[182:183], v[52:53], 0, v[106:107]
	v_mad_u64_u32 v[48:49], s[12:13], v172, 24, v[48:49]
	v_pk_fma_f16 v42, v43, v93, v50
	v_lshl_add_u64 v[184:185], v[48:49], 0, v[108:109]
	global_load_dword v50, v[182:183], off offset:8
	global_load_dword v212, v[184:185], off offset:8
	s_nop 0
	global_load_dwordx2 v[182:183], v[48:49], off
	s_nop 0
	global_load_dwordx2 v[52:53], v[52:53], off
	v_pk_fma_f16 v48, v43, v189, v54
	v_pk_fma_f16 v43, v188, v93, v51
	;; [unrolled: 1-line block ×3, first 2 shown]
	v_mul_u32_u24_sdwa v51, v32, s56 dst_sel:DWORD dst_unused:UNUSED_PAD src0_sel:WORD_0 src1_sel:DWORD
	s_waitcnt lgkmcnt(13)
	v_mul_u32_u24_sdwa v54, v36, s56 dst_sel:DWORD dst_unused:UNUSED_PAD src0_sel:WORD_0 src1_sel:DWORD
	ds_write_b128 v195, v[40:43]
	ds_write_b128 v195, v[46:49] offset:16
	v_mul_u32_u24_sdwa v32, v32, s56 dst_sel:DWORD dst_unused:UNUSED_PAD src0_sel:WORD_1 src1_sel:DWORD
	v_mul_u32_u24_sdwa v36, v36, s56 dst_sel:DWORD dst_unused:UNUSED_PAD src0_sel:WORD_1 src1_sel:DWORD
	s_waitcnt vmcnt(7)
	v_ashrrev_i32_e32 v55, v205, v214
	v_and_b32_e32 v55, 0xf0f0f0f, v55
	s_waitcnt vmcnt(4)
	v_lshrrev_b32_e32 v93, v204, v45
	v_lshlrev_b32_e32 v93, 4, v93
	v_and_or_b32 v55, v93, 16, v55
	v_lshrrev_b32_e32 v93, v206, v45
	v_lshrrev_b32_e32 v184, v207, v45
	;; [unrolled: 1-line block ×3, first 2 shown]
	v_lshlrev_b32_e32 v93, 12, v93
	v_lshlrev_b32_e32 v184, 20, v184
	;; [unrolled: 1-line block ×3, first 2 shown]
	v_and_or_b32 v93, v93, s38, v55
	v_and_b32_e32 v184, 0x100000, v184
	v_and_b32_e32 v45, 0x10000000, v45
	v_or3_b32 v45, v184, v45, v93
	v_lshrrev_b32_e32 v93, 8, v93
	v_and_b32_e32 v55, 31, v55
	v_and_b32_e32 v93, 31, v93
	v_cvt_f16_u16_e32 v55, v55
	v_cvt_f16_u16_e32 v93, v93
	v_pack_b32_f16 v55, v55, v93
	v_and_b32_sdwa v93, v45, v211 dst_sel:DWORD dst_unused:UNUSED_PAD src0_sel:WORD_1 src1_sel:DWORD
	v_cvt_f16_u16_sdwa v45, v45 dst_sel:DWORD dst_unused:UNUSED_PAD src0_sel:BYTE_3
	v_cvt_f16_u16_e32 v93, v93
	v_mul_u32_u24_sdwa v184, v44, s56 dst_sel:DWORD dst_unused:UNUSED_PAD src0_sel:WORD_0 src1_sel:DWORD
	v_mul_u32_u24_sdwa v44, v44, s56 dst_sel:DWORD dst_unused:UNUSED_PAD src0_sel:WORD_1 src1_sel:DWORD
	v_pack_b32_f16 v45, v93, v45
	v_pk_fma_f16 v55, v55, v184, v44
	v_pk_fma_f16 v93, v45, v184, v44
	v_pk_fma_f16 v44, v55, v51, v40
	v_pk_fma_f16 v40, v55, v54, v46
	v_pk_fma_f16 v45, v93, v51, v41
	v_pk_fma_f16 v41, v93, v54, v47
	v_ashrrev_i32_e32 v46, v205, v215
	v_lshrrev_b32_e32 v47, v204, v187
	v_and_b32_e32 v46, 0xf0f0f0f, v46
	v_lshlrev_b32_e32 v47, 4, v47
	v_and_or_b32 v46, v47, 16, v46
	v_lshrrev_b32_e32 v47, v206, v187
	v_lshrrev_b32_e32 v55, v207, v187
	;; [unrolled: 1-line block ×3, first 2 shown]
	v_lshlrev_b32_e32 v47, 12, v47
	v_lshlrev_b32_e32 v55, 20, v55
	;; [unrolled: 1-line block ×3, first 2 shown]
	v_and_or_b32 v47, v47, s38, v46
	v_and_b32_e32 v55, 0x100000, v55
	v_and_b32_e32 v93, 0x10000000, v93
	v_or3_b32 v55, v55, v93, v47
	v_lshrrev_b32_e32 v47, 8, v47
	v_and_b32_e32 v46, 31, v46
	v_and_b32_e32 v47, 31, v47
	v_cvt_f16_u16_e32 v46, v46
	v_cvt_f16_u16_e32 v47, v47
	v_mul_u32_u24_sdwa v93, v186, s56 dst_sel:DWORD dst_unused:UNUSED_PAD src0_sel:WORD_0 src1_sel:DWORD
	v_mul_u32_u24_sdwa v184, v186, s56 dst_sel:DWORD dst_unused:UNUSED_PAD src0_sel:WORD_1 src1_sel:DWORD
	v_pack_b32_f16 v46, v46, v47
	v_pk_fma_f16 v47, v46, v93, v184
	v_and_b32_sdwa v46, v55, v211 dst_sel:DWORD dst_unused:UNUSED_PAD src0_sel:WORD_1 src1_sel:DWORD
	v_cvt_f16_u16_sdwa v55, v55 dst_sel:DWORD dst_unused:UNUSED_PAD src0_sel:BYTE_3
	v_cvt_f16_u16_e32 v46, v46
	v_pack_b32_f16 v46, v46, v55
	v_pk_fma_f16 v55, v46, v93, v184
	v_pk_fma_f16 v46, v47, v51, v42
	v_pk_fma_f16 v42, v47, v54, v48
	v_pk_fma_f16 v47, v55, v51, v43
	v_pk_fma_f16 v43, v55, v54, v49
	s_waitcnt vmcnt(3)
	v_ashrrev_i32_e32 v48, v205, v50
	v_and_b32_e32 v93, 0xf0f0f0f, v48
	ds_write_b128 v195, v[44:47]
	s_waitcnt vmcnt(0)
	v_lshrrev_b32_e32 v48, v204, v53
	v_lshlrev_b32_e32 v186, 4, v48
	v_lshl_add_u64 v[48:49], s[42:43], 0, v[128:129]
	v_mad_u64_u32 v[50:51], s[12:13], v174, 24, v[48:49]
	ds_write_b128 v195, v[40:43] offset:16
	v_lshl_add_u64 v[54:55], v[50:51], 0, v[106:107]
	v_mad_u64_u32 v[48:49], s[12:13], v172, 24, v[48:49]
	v_lshl_add_u64 v[184:185], v[48:49], 0, v[108:109]
	global_load_dword v187, v[54:55], off offset:8
	global_load_dword v188, v[184:185], off offset:8
	s_nop 0
	global_load_dwordx2 v[48:49], v[48:49], off
	s_nop 0
	global_load_dwordx2 v[50:51], v[50:51], off
	v_and_or_b32 v54, v186, 16, v93
	v_lshrrev_b32_e32 v55, v206, v53
	v_lshrrev_b32_e32 v93, v207, v53
	;; [unrolled: 1-line block ×3, first 2 shown]
	v_lshlrev_b32_e32 v55, 12, v55
	v_lshlrev_b32_e32 v93, 20, v93
	;; [unrolled: 1-line block ×3, first 2 shown]
	v_and_or_b32 v55, v55, s38, v54
	v_and_b32_e32 v93, 0x100000, v93
	v_and_b32_e32 v53, 0x10000000, v53
	v_or3_b32 v53, v93, v53, v55
	v_lshrrev_b32_e32 v55, 8, v55
	v_and_b32_e32 v54, 31, v54
	v_and_b32_e32 v55, 31, v55
	v_cvt_f16_u16_e32 v54, v54
	v_cvt_f16_u16_e32 v55, v55
	v_pack_b32_f16 v54, v54, v55
	v_and_b32_sdwa v55, v53, v211 dst_sel:DWORD dst_unused:UNUSED_PAD src0_sel:WORD_1 src1_sel:DWORD
	v_cvt_f16_u16_sdwa v53, v53 dst_sel:DWORD dst_unused:UNUSED_PAD src0_sel:BYTE_3
	v_cvt_f16_u16_e32 v55, v55
	v_mul_u32_u24_sdwa v93, v52, s56 dst_sel:DWORD dst_unused:UNUSED_PAD src0_sel:WORD_0 src1_sel:DWORD
	v_mul_u32_u24_sdwa v52, v52, s56 dst_sel:DWORD dst_unused:UNUSED_PAD src0_sel:WORD_1 src1_sel:DWORD
	v_pack_b32_f16 v53, v55, v53
	v_pk_fma_f16 v54, v54, v93, v52
	v_pk_fma_f16 v52, v53, v93, v52
	v_lshrrev_b32_e32 v53, v204, v183
	v_pk_fma_f16 v45, v52, v32, v45
	v_pk_fma_f16 v41, v52, v36, v41
	v_ashrrev_i32_e32 v52, v205, v212
	v_and_b32_e32 v52, 0xf0f0f0f, v52
	v_lshlrev_b32_e32 v53, 4, v53
	v_pk_fma_f16 v44, v54, v32, v44
	v_pk_fma_f16 v40, v54, v36, v40
	v_and_or_b32 v52, v53, 16, v52
	v_lshrrev_b32_e32 v53, v206, v183
	v_lshrrev_b32_e32 v54, v207, v183
	;; [unrolled: 1-line block ×3, first 2 shown]
	v_lshlrev_b32_e32 v53, 12, v53
	v_lshlrev_b32_e32 v54, 20, v54
	;; [unrolled: 1-line block ×3, first 2 shown]
	v_and_or_b32 v53, v53, s38, v52
	v_and_b32_e32 v54, 0x100000, v54
	v_and_b32_e32 v55, 0x10000000, v55
	v_or3_b32 v54, v54, v55, v53
	v_lshrrev_b32_e32 v53, 8, v53
	v_and_b32_e32 v52, 31, v52
	v_and_b32_e32 v53, 31, v53
	v_cvt_f16_u16_e32 v52, v52
	v_cvt_f16_u16_e32 v53, v53
	v_mul_u32_u24_sdwa v55, v182, s56 dst_sel:DWORD dst_unused:UNUSED_PAD src0_sel:WORD_0 src1_sel:DWORD
	v_mul_u32_u24_sdwa v93, v182, s56 dst_sel:DWORD dst_unused:UNUSED_PAD src0_sel:WORD_1 src1_sel:DWORD
	v_pack_b32_f16 v52, v52, v53
	v_pk_fma_f16 v186, v52, v55, v93
	v_and_b32_sdwa v52, v54, v211 dst_sel:DWORD dst_unused:UNUSED_PAD src0_sel:WORD_1 src1_sel:DWORD
	v_cvt_f16_u16_sdwa v53, v54 dst_sel:DWORD dst_unused:UNUSED_PAD src0_sel:BYTE_3
	v_cvt_f16_u16_e32 v52, v52
	v_pack_b32_f16 v52, v52, v53
	v_pk_fma_f16 v93, v52, v55, v93
	v_lshl_add_u64 v[52:53], s[42:43], 0, v[130:131]
	v_mad_u64_u32 v[54:55], s[12:13], v174, 24, v[52:53]
	v_lshl_add_u64 v[182:183], v[54:55], 0, v[106:107]
	v_mad_u64_u32 v[52:53], s[12:13], v172, 24, v[52:53]
	v_lshl_add_u64 v[184:185], v[52:53], 0, v[108:109]
	global_load_dword v182, v[182:183], off offset:8
	s_nop 0
	global_load_dword v183, v[184:185], off offset:8
	s_nop 0
	global_load_dwordx2 v[52:53], v[52:53], off
	s_nop 0
	global_load_dwordx2 v[54:55], v[54:55], off
	v_pk_fma_f16 v47, v93, v32, v47
	v_pk_fma_f16 v43, v93, v36, v43
	;; [unrolled: 1-line block ×4, first 2 shown]
	v_mul_u32_u24_sdwa v32, v33, s56 dst_sel:DWORD dst_unused:UNUSED_PAD src0_sel:WORD_0 src1_sel:DWORD
	v_mul_u32_u24_sdwa v36, v37, s56 dst_sel:DWORD dst_unused:UNUSED_PAD src0_sel:WORD_0 src1_sel:DWORD
	ds_write_b128 v195, v[44:47]
	ds_write_b128 v195, v[40:43] offset:16
	s_waitcnt vmcnt(7)
	v_ashrrev_i32_e32 v93, v205, v187
	v_and_b32_e32 v93, 0xf0f0f0f, v93
	s_waitcnt vmcnt(4)
	v_lshrrev_b32_e32 v184, v204, v51
	v_lshlrev_b32_e32 v184, 4, v184
	v_and_or_b32 v93, v184, 16, v93
	v_lshrrev_b32_e32 v184, v206, v51
	v_lshrrev_b32_e32 v185, v207, v51
	;; [unrolled: 1-line block ×3, first 2 shown]
	v_lshlrev_b32_e32 v184, 12, v184
	v_lshlrev_b32_e32 v185, 20, v185
	;; [unrolled: 1-line block ×3, first 2 shown]
	v_and_or_b32 v184, v184, s38, v93
	v_and_b32_e32 v185, 0x100000, v185
	v_and_b32_e32 v51, 0x10000000, v51
	v_or3_b32 v51, v185, v51, v184
	v_lshrrev_b32_e32 v184, 8, v184
	v_and_b32_e32 v93, 31, v93
	v_and_b32_e32 v184, 31, v184
	v_cvt_f16_u16_e32 v93, v93
	v_cvt_f16_u16_e32 v184, v184
	v_pack_b32_f16 v93, v93, v184
	v_and_b32_sdwa v184, v51, v211 dst_sel:DWORD dst_unused:UNUSED_PAD src0_sel:WORD_1 src1_sel:DWORD
	v_cvt_f16_u16_sdwa v51, v51 dst_sel:DWORD dst_unused:UNUSED_PAD src0_sel:BYTE_3
	v_cvt_f16_u16_e32 v184, v184
	v_mul_u32_u24_sdwa v185, v50, s56 dst_sel:DWORD dst_unused:UNUSED_PAD src0_sel:WORD_0 src1_sel:DWORD
	v_mul_u32_u24_sdwa v50, v50, s56 dst_sel:DWORD dst_unused:UNUSED_PAD src0_sel:WORD_1 src1_sel:DWORD
	v_pack_b32_f16 v51, v184, v51
	v_pk_fma_f16 v93, v93, v185, v50
	v_pk_fma_f16 v50, v51, v185, v50
	v_lshrrev_b32_e32 v51, v204, v49
	v_pk_fma_f16 v45, v50, v32, v45
	v_pk_fma_f16 v41, v50, v36, v41
	v_ashrrev_i32_e32 v50, v205, v188
	v_and_b32_e32 v50, 0xf0f0f0f, v50
	v_lshlrev_b32_e32 v51, 4, v51
	v_pk_fma_f16 v44, v93, v32, v44
	v_pk_fma_f16 v40, v93, v36, v40
	v_and_or_b32 v50, v51, 16, v50
	v_lshrrev_b32_e32 v51, v206, v49
	v_lshrrev_b32_e32 v93, v207, v49
	;; [unrolled: 1-line block ×3, first 2 shown]
	v_lshlrev_b32_e32 v51, 12, v51
	v_lshlrev_b32_e32 v93, 20, v93
	;; [unrolled: 1-line block ×3, first 2 shown]
	v_and_or_b32 v51, v51, s38, v50
	v_and_b32_e32 v93, 0x100000, v93
	v_and_b32_e32 v49, 0x10000000, v49
	v_or3_b32 v49, v93, v49, v51
	v_lshrrev_b32_e32 v51, 8, v51
	v_and_b32_e32 v50, 31, v50
	v_and_b32_e32 v51, 31, v51
	v_cvt_f16_u16_e32 v50, v50
	v_cvt_f16_u16_e32 v51, v51
	v_pack_b32_f16 v50, v50, v51
	v_and_b32_sdwa v51, v49, v211 dst_sel:DWORD dst_unused:UNUSED_PAD src0_sel:WORD_1 src1_sel:DWORD
	v_cvt_f16_u16_sdwa v49, v49 dst_sel:DWORD dst_unused:UNUSED_PAD src0_sel:BYTE_3
	v_cvt_f16_u16_e32 v51, v51
	v_mul_u32_u24_sdwa v93, v48, s56 dst_sel:DWORD dst_unused:UNUSED_PAD src0_sel:WORD_0 src1_sel:DWORD
	v_mul_u32_u24_sdwa v48, v48, s56 dst_sel:DWORD dst_unused:UNUSED_PAD src0_sel:WORD_1 src1_sel:DWORD
	v_pack_b32_f16 v49, v51, v49
	v_pk_fma_f16 v50, v50, v93, v48
	v_pk_fma_f16 v48, v49, v93, v48
	;; [unrolled: 1-line block ×4, first 2 shown]
	v_mul_u32_u24_sdwa v93, v33, s56 dst_sel:DWORD dst_unused:UNUSED_PAD src0_sel:WORD_1 src1_sel:DWORD
	s_waitcnt vmcnt(3)
	v_ashrrev_i32_e32 v32, v205, v182
	v_and_b32_e32 v182, 0xf0f0f0f, v32
	v_pk_fma_f16 v42, v50, v36, v42
	s_waitcnt vmcnt(0)
	v_lshrrev_b32_e32 v32, v204, v55
	v_lshlrev_b32_e32 v185, 4, v32
	v_lshl_add_u64 v[32:33], s[42:43], 0, v[132:133]
	v_pk_fma_f16 v43, v48, v36, v43
	v_mul_u32_u24_sdwa v184, v37, s56 dst_sel:DWORD dst_unused:UNUSED_PAD src0_sel:WORD_1 src1_sel:DWORD
	v_mad_u64_u32 v[36:37], s[12:13], v174, 24, v[32:33]
	v_mad_u64_u32 v[32:33], s[12:13], v172, 24, v[32:33]
	ds_write_b128 v195, v[44:47]
	ds_write_b128 v195, v[40:43] offset:16
	v_lshl_add_u64 v[48:49], v[36:37], 0, v[106:107]
	v_lshl_add_u64 v[50:51], v[32:33], 0, v[108:109]
	global_load_dword v186, v[48:49], off offset:8
	global_load_dword v187, v[50:51], off offset:8
	s_nop 0
	global_load_dwordx2 v[32:33], v[32:33], off
	s_nop 0
	global_load_dwordx2 v[36:37], v[36:37], off
	v_lshrrev_b32_e32 v49, v206, v55
	v_lshrrev_b32_e32 v50, v207, v55
	;; [unrolled: 1-line block ×3, first 2 shown]
	v_and_or_b32 v48, v185, 16, v182
	v_lshlrev_b32_e32 v49, 12, v49
	v_lshlrev_b32_e32 v50, 20, v50
	;; [unrolled: 1-line block ×3, first 2 shown]
	v_and_or_b32 v49, v49, s38, v48
	v_and_b32_e32 v50, 0x100000, v50
	v_and_b32_e32 v51, 0x10000000, v51
	v_or3_b32 v50, v50, v51, v49
	v_lshrrev_b32_e32 v49, 8, v49
	v_and_b32_e32 v48, 31, v48
	v_and_b32_e32 v49, 31, v49
	v_cvt_f16_u16_e32 v48, v48
	v_cvt_f16_u16_e32 v49, v49
	v_pack_b32_f16 v48, v48, v49
	v_and_b32_sdwa v49, v50, v211 dst_sel:DWORD dst_unused:UNUSED_PAD src0_sel:WORD_1 src1_sel:DWORD
	v_cvt_f16_u16_sdwa v50, v50 dst_sel:DWORD dst_unused:UNUSED_PAD src0_sel:BYTE_3
	v_cvt_f16_u16_e32 v49, v49
	v_mul_u32_u24_sdwa v51, v54, s56 dst_sel:DWORD dst_unused:UNUSED_PAD src0_sel:WORD_0 src1_sel:DWORD
	v_mul_u32_u24_sdwa v54, v54, s56 dst_sel:DWORD dst_unused:UNUSED_PAD src0_sel:WORD_1 src1_sel:DWORD
	v_pack_b32_f16 v49, v49, v50
	v_pk_fma_f16 v48, v48, v51, v54
	v_pk_fma_f16 v49, v49, v51, v54
	v_pk_fma_f16 v44, v48, v93, v44
	v_pk_fma_f16 v40, v48, v184, v40
	v_pk_fma_f16 v45, v49, v93, v45
	v_pk_fma_f16 v41, v49, v184, v41
	v_ashrrev_i32_e32 v48, v205, v183
	v_lshrrev_b32_e32 v49, v204, v53
	v_and_b32_e32 v48, 0xf0f0f0f, v48
	v_lshlrev_b32_e32 v49, 4, v49
	v_and_or_b32 v48, v49, 16, v48
	v_lshrrev_b32_e32 v49, v206, v53
	v_lshrrev_b32_e32 v50, v207, v53
	;; [unrolled: 1-line block ×3, first 2 shown]
	v_lshlrev_b32_e32 v49, 12, v49
	v_lshlrev_b32_e32 v50, 20, v50
	;; [unrolled: 1-line block ×3, first 2 shown]
	v_and_or_b32 v49, v49, s38, v48
	v_and_b32_e32 v50, 0x100000, v50
	v_and_b32_e32 v51, 0x10000000, v51
	v_or3_b32 v50, v50, v51, v49
	v_lshrrev_b32_e32 v49, 8, v49
	v_and_b32_e32 v48, 31, v48
	v_and_b32_e32 v49, 31, v49
	v_cvt_f16_u16_e32 v48, v48
	v_cvt_f16_u16_e32 v49, v49
	v_mul_u32_u24_sdwa v51, v52, s56 dst_sel:DWORD dst_unused:UNUSED_PAD src0_sel:WORD_0 src1_sel:DWORD
	v_mul_u32_u24_sdwa v52, v52, s56 dst_sel:DWORD dst_unused:UNUSED_PAD src0_sel:WORD_1 src1_sel:DWORD
	v_pack_b32_f16 v48, v48, v49
	v_pk_fma_f16 v182, v48, v51, v52
	v_and_b32_sdwa v48, v50, v211 dst_sel:DWORD dst_unused:UNUSED_PAD src0_sel:WORD_1 src1_sel:DWORD
	v_cvt_f16_u16_sdwa v49, v50 dst_sel:DWORD dst_unused:UNUSED_PAD src0_sel:BYTE_3
	v_cvt_f16_u16_e32 v48, v48
	v_pack_b32_f16 v48, v48, v49
	v_pk_fma_f16 v183, v48, v51, v52
	v_lshl_add_u64 v[48:49], s[42:43], 0, v[134:135]
	v_mad_u64_u32 v[50:51], s[12:13], v174, 24, v[48:49]
	v_lshl_add_u64 v[52:53], v[50:51], 0, v[106:107]
	v_mad_u64_u32 v[48:49], s[12:13], v172, 24, v[48:49]
	v_lshl_add_u64 v[54:55], v[48:49], 0, v[108:109]
	global_load_dword v185, v[52:53], off offset:8
	global_load_dword v188, v[54:55], off offset:8
	s_nop 0
	global_load_dwordx2 v[52:53], v[48:49], off
	s_nop 0
	global_load_dwordx2 v[48:49], v[50:51], off
	v_pk_fma_f16 v46, v182, v93, v46
	v_pk_fma_f16 v47, v183, v93, v47
	;; [unrolled: 1-line block ×4, first 2 shown]
	v_mul_u32_u24_sdwa v50, v34, s56 dst_sel:DWORD dst_unused:UNUSED_PAD src0_sel:WORD_0 src1_sel:DWORD
	v_mul_u32_u24_sdwa v51, v38, s56 dst_sel:DWORD dst_unused:UNUSED_PAD src0_sel:WORD_0 src1_sel:DWORD
	ds_write_b128 v195, v[44:47]
	ds_write_b128 v195, v[40:43] offset:16
	v_mul_u32_u24_sdwa v34, v34, s56 dst_sel:DWORD dst_unused:UNUSED_PAD src0_sel:WORD_1 src1_sel:DWORD
	v_mul_u32_u24_sdwa v38, v38, s56 dst_sel:DWORD dst_unused:UNUSED_PAD src0_sel:WORD_1 src1_sel:DWORD
	s_waitcnt vmcnt(7)
	v_ashrrev_i32_e32 v54, v205, v186
	v_and_b32_e32 v54, 0xf0f0f0f, v54
	s_waitcnt vmcnt(4)
	v_lshrrev_b32_e32 v55, v204, v37
	v_lshlrev_b32_e32 v55, 4, v55
	v_and_or_b32 v54, v55, 16, v54
	v_lshrrev_b32_e32 v55, v206, v37
	v_lshrrev_b32_e32 v93, v207, v37
	;; [unrolled: 1-line block ×3, first 2 shown]
	v_lshlrev_b32_e32 v55, 12, v55
	v_lshlrev_b32_e32 v93, 20, v93
	;; [unrolled: 1-line block ×3, first 2 shown]
	v_and_or_b32 v55, v55, s38, v54
	v_and_b32_e32 v93, 0x100000, v93
	v_and_b32_e32 v37, 0x10000000, v37
	v_or3_b32 v37, v93, v37, v55
	v_lshrrev_b32_e32 v55, 8, v55
	v_and_b32_e32 v54, 31, v54
	v_and_b32_e32 v55, 31, v55
	v_cvt_f16_u16_e32 v54, v54
	v_cvt_f16_u16_e32 v55, v55
	v_pack_b32_f16 v54, v54, v55
	v_and_b32_sdwa v55, v37, v211 dst_sel:DWORD dst_unused:UNUSED_PAD src0_sel:WORD_1 src1_sel:DWORD
	v_cvt_f16_u16_sdwa v37, v37 dst_sel:DWORD dst_unused:UNUSED_PAD src0_sel:BYTE_3
	v_cvt_f16_u16_e32 v55, v55
	v_mul_u32_u24_sdwa v93, v36, s56 dst_sel:DWORD dst_unused:UNUSED_PAD src0_sel:WORD_0 src1_sel:DWORD
	v_mul_u32_u24_sdwa v36, v36, s56 dst_sel:DWORD dst_unused:UNUSED_PAD src0_sel:WORD_1 src1_sel:DWORD
	v_pack_b32_f16 v37, v55, v37
	v_pk_fma_f16 v54, v54, v93, v36
	v_pk_fma_f16 v36, v37, v93, v36
	v_lshrrev_b32_e32 v37, v204, v33
	v_pk_fma_f16 v45, v36, v50, v45
	v_pk_fma_f16 v41, v36, v51, v41
	v_ashrrev_i32_e32 v36, v205, v187
	v_and_b32_e32 v36, 0xf0f0f0f, v36
	v_lshlrev_b32_e32 v37, 4, v37
	v_pk_fma_f16 v44, v54, v50, v44
	v_pk_fma_f16 v40, v54, v51, v40
	v_and_or_b32 v36, v37, 16, v36
	v_lshrrev_b32_e32 v37, v206, v33
	v_lshrrev_b32_e32 v54, v207, v33
	;; [unrolled: 1-line block ×3, first 2 shown]
	v_lshlrev_b32_e32 v37, 12, v37
	v_lshlrev_b32_e32 v54, 20, v54
	;; [unrolled: 1-line block ×3, first 2 shown]
	v_and_or_b32 v37, v37, s38, v36
	v_and_b32_e32 v54, 0x100000, v54
	v_and_b32_e32 v33, 0x10000000, v33
	v_or3_b32 v33, v54, v33, v37
	v_lshrrev_b32_e32 v37, 8, v37
	v_and_b32_e32 v36, 31, v36
	v_and_b32_e32 v37, 31, v37
	v_cvt_f16_u16_e32 v36, v36
	v_cvt_f16_u16_e32 v37, v37
	v_pack_b32_f16 v36, v36, v37
	v_and_b32_sdwa v37, v33, v211 dst_sel:DWORD dst_unused:UNUSED_PAD src0_sel:WORD_1 src1_sel:DWORD
	v_cvt_f16_u16_sdwa v33, v33 dst_sel:DWORD dst_unused:UNUSED_PAD src0_sel:BYTE_3
	v_cvt_f16_u16_e32 v37, v37
	v_mul_u32_u24_sdwa v54, v32, s56 dst_sel:DWORD dst_unused:UNUSED_PAD src0_sel:WORD_0 src1_sel:DWORD
	v_mul_u32_u24_sdwa v32, v32, s56 dst_sel:DWORD dst_unused:UNUSED_PAD src0_sel:WORD_1 src1_sel:DWORD
	v_pack_b32_f16 v33, v37, v33
	v_pk_fma_f16 v36, v36, v54, v32
	v_pk_fma_f16 v32, v33, v54, v32
	;; [unrolled: 1-line block ×5, first 2 shown]
	s_waitcnt vmcnt(3)
	v_ashrrev_i32_e32 v32, v205, v185
	v_and_b32_e32 v93, 0xf0f0f0f, v32
	v_pk_fma_f16 v42, v36, v51, v42
	s_waitcnt vmcnt(0)
	v_lshrrev_b32_e32 v32, v204, v49
	v_lshlrev_b32_e32 v182, 4, v32
	v_lshl_add_u64 v[32:33], s[42:43], 0, v[136:137]
	v_mad_u64_u32 v[36:37], s[12:13], v174, 24, v[32:33]
	v_mad_u64_u32 v[32:33], s[12:13], v172, 24, v[32:33]
	ds_write_b128 v195, v[44:47]
	ds_write_b128 v195, v[40:43] offset:16
	v_lshl_add_u64 v[50:51], v[36:37], 0, v[106:107]
	v_lshl_add_u64 v[54:55], v[32:33], 0, v[108:109]
	global_load_dword v183, v[50:51], off offset:8
	global_load_dword v184, v[54:55], off offset:8
	s_nop 0
	global_load_dwordx2 v[32:33], v[32:33], off
	s_nop 0
	global_load_dwordx2 v[36:37], v[36:37], off
	v_lshrrev_b32_e32 v51, v206, v49
	v_lshrrev_b32_e32 v54, v207, v49
	v_lshrrev_b32_e32 v49, v208, v49
	v_and_or_b32 v50, v182, 16, v93
	v_lshlrev_b32_e32 v51, 12, v51
	v_lshlrev_b32_e32 v54, 20, v54
	;; [unrolled: 1-line block ×3, first 2 shown]
	v_and_or_b32 v51, v51, s38, v50
	v_and_b32_e32 v54, 0x100000, v54
	v_and_b32_e32 v49, 0x10000000, v49
	v_or3_b32 v49, v54, v49, v51
	v_lshrrev_b32_e32 v51, 8, v51
	v_and_b32_e32 v50, 31, v50
	v_and_b32_e32 v51, 31, v51
	v_cvt_f16_u16_e32 v50, v50
	v_cvt_f16_u16_e32 v51, v51
	v_pack_b32_f16 v50, v50, v51
	v_and_b32_sdwa v51, v49, v211 dst_sel:DWORD dst_unused:UNUSED_PAD src0_sel:WORD_1 src1_sel:DWORD
	v_cvt_f16_u16_sdwa v49, v49 dst_sel:DWORD dst_unused:UNUSED_PAD src0_sel:BYTE_3
	v_cvt_f16_u16_e32 v51, v51
	v_mul_u32_u24_sdwa v54, v48, s56 dst_sel:DWORD dst_unused:UNUSED_PAD src0_sel:WORD_0 src1_sel:DWORD
	v_mul_u32_u24_sdwa v48, v48, s56 dst_sel:DWORD dst_unused:UNUSED_PAD src0_sel:WORD_1 src1_sel:DWORD
	v_pack_b32_f16 v49, v51, v49
	v_pk_fma_f16 v50, v50, v54, v48
	v_pk_fma_f16 v49, v49, v54, v48
	;; [unrolled: 1-line block ×5, first 2 shown]
	v_ashrrev_i32_e32 v40, v205, v188
	v_lshrrev_b32_e32 v41, v204, v53
	v_and_b32_e32 v40, 0xf0f0f0f, v40
	v_lshlrev_b32_e32 v41, 4, v41
	v_pk_fma_f16 v44, v50, v34, v44
	v_and_or_b32 v40, v41, 16, v40
	v_lshrrev_b32_e32 v41, v206, v53
	v_lshrrev_b32_e32 v50, v207, v53
	;; [unrolled: 1-line block ×3, first 2 shown]
	v_lshlrev_b32_e32 v41, 12, v41
	v_lshlrev_b32_e32 v50, 20, v50
	;; [unrolled: 1-line block ×3, first 2 shown]
	v_and_or_b32 v41, v41, s38, v40
	v_and_b32_e32 v50, 0x100000, v50
	v_and_b32_e32 v51, 0x10000000, v51
	v_or3_b32 v50, v50, v51, v41
	v_lshrrev_b32_e32 v41, 8, v41
	v_and_b32_e32 v40, 31, v40
	v_and_b32_e32 v41, 31, v41
	v_cvt_f16_u16_e32 v40, v40
	v_cvt_f16_u16_e32 v41, v41
	v_mul_u32_u24_sdwa v51, v52, s56 dst_sel:DWORD dst_unused:UNUSED_PAD src0_sel:WORD_0 src1_sel:DWORD
	v_mul_u32_u24_sdwa v52, v52, s56 dst_sel:DWORD dst_unused:UNUSED_PAD src0_sel:WORD_1 src1_sel:DWORD
	v_pack_b32_f16 v40, v40, v41
	v_pk_fma_f16 v93, v40, v51, v52
	v_and_b32_sdwa v40, v50, v211 dst_sel:DWORD dst_unused:UNUSED_PAD src0_sel:WORD_1 src1_sel:DWORD
	v_cvt_f16_u16_sdwa v41, v50 dst_sel:DWORD dst_unused:UNUSED_PAD src0_sel:BYTE_3
	v_cvt_f16_u16_e32 v40, v40
	v_pack_b32_f16 v40, v40, v41
	v_pk_fma_f16 v182, v40, v51, v52
	v_lshl_add_u64 v[40:41], s[42:43], 0, v[138:139]
	v_mad_u64_u32 v[50:51], s[12:13], v174, 24, v[40:41]
	v_lshl_add_u64 v[52:53], v[50:51], 0, v[106:107]
	v_mad_u64_u32 v[40:41], s[12:13], v172, 24, v[40:41]
	v_lshl_add_u64 v[54:55], v[40:41], 0, v[108:109]
	global_load_dword v185, v[52:53], off offset:8
	global_load_dword v188, v[54:55], off offset:8
	s_nop 0
	global_load_dwordx2 v[40:41], v[40:41], off
	s_nop 0
	global_load_dwordx2 v[186:187], v[50:51], off
	v_pk_fma_f16 v50, v93, v38, v42
	v_pk_fma_f16 v51, v182, v38, v43
	;; [unrolled: 1-line block ×4, first 2 shown]
	v_mul_u32_u24_sdwa v34, v35, s56 dst_sel:DWORD dst_unused:UNUSED_PAD src0_sel:WORD_0 src1_sel:DWORD
	v_mul_u32_u24_sdwa v38, v39, s56 dst_sel:DWORD dst_unused:UNUSED_PAD src0_sel:WORD_0 src1_sel:DWORD
	ds_write_b128 v195, v[44:47]
	ds_write_b128 v195, v[48:51] offset:16
	s_waitcnt vmcnt(7)
	v_ashrrev_i32_e32 v42, v205, v183
	v_and_b32_e32 v42, 0xf0f0f0f, v42
	s_waitcnt vmcnt(4)
	v_lshrrev_b32_e32 v43, v204, v37
	v_lshlrev_b32_e32 v43, 4, v43
	v_and_or_b32 v42, v43, 16, v42
	v_lshrrev_b32_e32 v43, v206, v37
	v_lshrrev_b32_e32 v52, v207, v37
	;; [unrolled: 1-line block ×3, first 2 shown]
	v_lshlrev_b32_e32 v43, 12, v43
	v_lshlrev_b32_e32 v52, 20, v52
	v_lshlrev_b32_e32 v37, 28, v37
	v_and_or_b32 v43, v43, s38, v42
	v_and_b32_e32 v52, 0x100000, v52
	v_and_b32_e32 v37, 0x10000000, v37
	v_or3_b32 v37, v52, v37, v43
	v_lshrrev_b32_e32 v43, 8, v43
	v_and_b32_e32 v42, 31, v42
	v_and_b32_e32 v43, 31, v43
	v_cvt_f16_u16_e32 v42, v42
	v_cvt_f16_u16_e32 v43, v43
	v_pack_b32_f16 v42, v42, v43
	v_and_b32_sdwa v43, v37, v211 dst_sel:DWORD dst_unused:UNUSED_PAD src0_sel:WORD_1 src1_sel:DWORD
	v_cvt_f16_u16_sdwa v37, v37 dst_sel:DWORD dst_unused:UNUSED_PAD src0_sel:BYTE_3
	v_cvt_f16_u16_e32 v43, v43
	v_mul_u32_u24_sdwa v52, v36, s56 dst_sel:DWORD dst_unused:UNUSED_PAD src0_sel:WORD_0 src1_sel:DWORD
	v_mul_u32_u24_sdwa v36, v36, s56 dst_sel:DWORD dst_unused:UNUSED_PAD src0_sel:WORD_1 src1_sel:DWORD
	v_pack_b32_f16 v37, v43, v37
	v_pk_fma_f16 v42, v42, v52, v36
	v_pk_fma_f16 v36, v37, v52, v36
	v_lshrrev_b32_e32 v37, v204, v33
	v_pk_fma_f16 v53, v36, v34, v45
	v_pk_fma_f16 v43, v36, v38, v49
	v_ashrrev_i32_e32 v36, v205, v184
	v_and_b32_e32 v36, 0xf0f0f0f, v36
	v_lshlrev_b32_e32 v37, 4, v37
	v_pk_fma_f16 v52, v42, v34, v44
	v_and_or_b32 v36, v37, 16, v36
	v_lshrrev_b32_e32 v37, v206, v33
	v_lshrrev_b32_e32 v44, v207, v33
	;; [unrolled: 1-line block ×3, first 2 shown]
	v_lshlrev_b32_e32 v37, 12, v37
	v_lshlrev_b32_e32 v44, 20, v44
	;; [unrolled: 1-line block ×3, first 2 shown]
	v_and_or_b32 v37, v37, s38, v36
	v_and_b32_e32 v44, 0x100000, v44
	v_and_b32_e32 v33, 0x10000000, v33
	v_or3_b32 v33, v44, v33, v37
	v_lshrrev_b32_e32 v37, 8, v37
	v_and_b32_e32 v36, 31, v36
	v_and_b32_e32 v37, 31, v37
	v_cvt_f16_u16_e32 v36, v36
	v_cvt_f16_u16_e32 v37, v37
	v_pack_b32_f16 v36, v36, v37
	v_and_b32_sdwa v37, v33, v211 dst_sel:DWORD dst_unused:UNUSED_PAD src0_sel:WORD_1 src1_sel:DWORD
	v_cvt_f16_u16_sdwa v33, v33 dst_sel:DWORD dst_unused:UNUSED_PAD src0_sel:BYTE_3
	v_cvt_f16_u16_e32 v37, v37
	v_mul_u32_u24_sdwa v44, v32, s56 dst_sel:DWORD dst_unused:UNUSED_PAD src0_sel:WORD_0 src1_sel:DWORD
	v_mul_u32_u24_sdwa v32, v32, s56 dst_sel:DWORD dst_unused:UNUSED_PAD src0_sel:WORD_1 src1_sel:DWORD
	v_pack_b32_f16 v33, v37, v33
	v_pk_fma_f16 v36, v36, v44, v32
	v_pk_fma_f16 v32, v33, v44, v32
	;; [unrolled: 1-line block ×6, first 2 shown]
	s_waitcnt vmcnt(3)
	v_ashrrev_i32_e32 v32, v205, v185
	v_and_b32_e32 v32, 0xf0f0f0f, v32
	v_pk_fma_f16 v44, v36, v38, v50
	s_waitcnt vmcnt(0)
	v_lshrrev_b32_e32 v33, v204, v187
	v_lshlrev_b32_e32 v33, 4, v33
	v_and_or_b32 v48, v33, 16, v32
	v_lshrrev_b32_e32 v32, v206, v187
	v_lshlrev_b32_e32 v32, 12, v32
	v_and_or_b32 v49, v32, s38, v48
	v_lshl_add_u64 v[32:33], s[42:43], 0, v[140:141]
	v_mul_u32_u24_sdwa v46, v35, s56 dst_sel:DWORD dst_unused:UNUSED_PAD src0_sel:WORD_1 src1_sel:DWORD
	v_mad_u64_u32 v[34:35], s[12:13], v174, 24, v[32:33]
	ds_write_b128 v195, v[52:55]
	ds_write_b128 v195, v[42:45] offset:16
	v_lshl_add_u64 v[36:37], v[34:35], 0, v[106:107]
	v_mad_u64_u32 v[32:33], s[12:13], v172, 24, v[32:33]
	v_mul_u32_u24_sdwa v47, v39, s56 dst_sel:DWORD dst_unused:UNUSED_PAD src0_sel:WORD_1 src1_sel:DWORD
	v_lshl_add_u64 v[38:39], v[32:33], 0, v[108:109]
	global_load_dword v212, v[36:37], off offset:8
	global_load_dword v93, v[38:39], off offset:8
	global_load_dwordx2 v[182:183], v[32:33], off
	global_load_dwordx2 v[184:185], v[34:35], off
	v_lshrrev_b32_e32 v32, v207, v187
	v_lshrrev_b32_e32 v33, v208, v187
	v_lshlrev_b32_e32 v32, 20, v32
	v_lshlrev_b32_e32 v33, 28, v33
	v_and_b32_e32 v32, 0x100000, v32
	v_and_b32_e32 v33, 0x10000000, v33
	v_lshrrev_b32_e32 v34, 8, v49
	v_or3_b32 v32, v32, v33, v49
	v_and_b32_e32 v33, 31, v48
	v_and_b32_e32 v34, 31, v34
	v_cvt_f16_u16_e32 v33, v33
	v_cvt_f16_u16_e32 v34, v34
	v_pack_b32_f16 v33, v33, v34
	v_and_b32_sdwa v34, v32, v211 dst_sel:DWORD dst_unused:UNUSED_PAD src0_sel:WORD_1 src1_sel:DWORD
	v_cvt_f16_u16_sdwa v32, v32 dst_sel:DWORD dst_unused:UNUSED_PAD src0_sel:BYTE_3
	v_cvt_f16_u16_e32 v34, v34
	v_mul_u32_u24_sdwa v35, v186, s56 dst_sel:DWORD dst_unused:UNUSED_PAD src0_sel:WORD_0 src1_sel:DWORD
	v_mul_u32_u24_sdwa v36, v186, s56 dst_sel:DWORD dst_unused:UNUSED_PAD src0_sel:WORD_1 src1_sel:DWORD
	v_pack_b32_f16 v32, v34, v32
	v_pk_fma_f16 v33, v33, v35, v36
	v_pk_fma_f16 v32, v32, v35, v36
	;; [unrolled: 1-line block ×6, first 2 shown]
	v_ashrrev_i32_e32 v32, v205, v188
	v_lshrrev_b32_e32 v33, v204, v41
	v_and_b32_e32 v32, 0xf0f0f0f, v32
	v_lshlrev_b32_e32 v33, 4, v33
	v_and_or_b32 v32, v33, 16, v32
	v_lshrrev_b32_e32 v33, v206, v41
	v_lshrrev_b32_e32 v34, v207, v41
	;; [unrolled: 1-line block ×3, first 2 shown]
	v_lshlrev_b32_e32 v33, 12, v33
	v_lshlrev_b32_e32 v34, 20, v34
	;; [unrolled: 1-line block ×3, first 2 shown]
	v_and_or_b32 v33, v33, s38, v32
	v_and_b32_e32 v34, 0x100000, v34
	v_and_b32_e32 v35, 0x10000000, v35
	v_or3_b32 v34, v34, v35, v33
	v_lshrrev_b32_e32 v33, 8, v33
	v_and_b32_e32 v32, 31, v32
	v_and_b32_e32 v33, 31, v33
	v_cvt_f16_u16_e32 v32, v32
	v_cvt_f16_u16_e32 v33, v33
	v_pack_b32_f16 v32, v32, v33
	v_and_b32_sdwa v33, v34, v211 dst_sel:DWORD dst_unused:UNUSED_PAD src0_sel:WORD_1 src1_sel:DWORD
	v_mul_u32_u24_sdwa v35, v40, s56 dst_sel:DWORD dst_unused:UNUSED_PAD src0_sel:WORD_0 src1_sel:DWORD
	v_mul_u32_u24_sdwa v36, v40, s56 dst_sel:DWORD dst_unused:UNUSED_PAD src0_sel:WORD_1 src1_sel:DWORD
	v_cvt_f16_u16_sdwa v34, v34 dst_sel:DWORD dst_unused:UNUSED_PAD src0_sel:BYTE_3
	v_cvt_f16_u16_e32 v33, v33
	v_pk_fma_f16 v32, v32, v35, v36
	v_pack_b32_f16 v33, v33, v34
	v_pk_fma_f16 v51, v33, v35, v36
	v_pk_fma_f16 v54, v32, v46, v54
	;; [unrolled: 1-line block ×3, first 2 shown]
	v_lshl_add_u64 v[32:33], s[42:43], 0, v[142:143]
	v_pk_fma_f16 v55, v51, v46, v55
	v_mad_u64_u32 v[34:35], s[12:13], v174, 24, v[32:33]
	ds_write_b128 v195, v[52:55]
	v_lshl_add_u64 v[36:37], v[34:35], 0, v[106:107]
	v_mad_u64_u32 v[32:33], s[12:13], v172, 24, v[32:33]
	ds_read_b128 v[40:43], v202 offset:32
	v_lshl_add_u64 v[38:39], v[32:33], 0, v[108:109]
	global_load_dword v214, v[36:37], off offset:8
	global_load_dword v213, v[38:39], off offset:8
	global_load_dwordx2 v[186:187], v[32:33], off
	global_load_dwordx2 v[188:189], v[34:35], off
	v_pk_fma_f16 v51, v51, v47, v45
	ds_read_b128 v[44:47], v202 offset:288
	ds_read_b128 v[32:35], v202 offset:48
	s_waitcnt lgkmcnt(2)
	v_mul_u32_u24_sdwa v215, v40, s56 dst_sel:DWORD dst_unused:UNUSED_PAD src0_sel:WORD_0 src1_sel:DWORD
	ds_write_b128 v195, v[48:51] offset:16
	ds_read_b128 v[36:39], v202 offset:304
	s_waitcnt lgkmcnt(3)
	v_mul_u32_u24_sdwa v216, v44, s56 dst_sel:DWORD dst_unused:UNUSED_PAD src0_sel:WORD_0 src1_sel:DWORD
	v_mul_u32_u24_sdwa v40, v40, s56 dst_sel:DWORD dst_unused:UNUSED_PAD src0_sel:WORD_1 src1_sel:DWORD
	v_mul_u32_u24_sdwa v44, v44, s56 dst_sel:DWORD dst_unused:UNUSED_PAD src0_sel:WORD_1 src1_sel:DWORD
	s_waitcnt vmcnt(7)
	v_ashrrev_i32_e32 v212, v205, v212
	v_and_b32_e32 v212, 0xf0f0f0f, v212
	s_waitcnt vmcnt(6)
	v_ashrrev_i32_e32 v93, v205, v93
	s_waitcnt vmcnt(4)
	v_lshrrev_b32_e32 v217, v204, v185
	v_lshlrev_b32_e32 v217, 4, v217
	v_and_or_b32 v212, v217, 16, v212
	v_lshrrev_b32_e32 v217, v206, v185
	v_lshrrev_b32_e32 v218, v207, v185
	;; [unrolled: 1-line block ×3, first 2 shown]
	v_lshlrev_b32_e32 v217, 12, v217
	v_lshlrev_b32_e32 v218, 20, v218
	;; [unrolled: 1-line block ×3, first 2 shown]
	v_and_or_b32 v217, v217, s38, v212
	v_and_b32_e32 v218, 0x100000, v218
	v_and_b32_e32 v185, 0x10000000, v185
	v_or3_b32 v185, v218, v185, v217
	v_lshrrev_b32_e32 v217, 8, v217
	v_and_b32_e32 v212, 31, v212
	v_and_b32_e32 v217, 31, v217
	v_cvt_f16_u16_e32 v212, v212
	v_cvt_f16_u16_e32 v217, v217
	v_pack_b32_f16 v212, v212, v217
	v_and_b32_sdwa v217, v185, v211 dst_sel:DWORD dst_unused:UNUSED_PAD src0_sel:WORD_1 src1_sel:DWORD
	v_cvt_f16_u16_sdwa v185, v185 dst_sel:DWORD dst_unused:UNUSED_PAD src0_sel:BYTE_3
	v_cvt_f16_u16_e32 v217, v217
	v_mul_u32_u24_sdwa v218, v184, s56 dst_sel:DWORD dst_unused:UNUSED_PAD src0_sel:WORD_0 src1_sel:DWORD
	v_mul_u32_u24_sdwa v184, v184, s56 dst_sel:DWORD dst_unused:UNUSED_PAD src0_sel:WORD_1 src1_sel:DWORD
	v_pack_b32_f16 v185, v217, v185
	v_pk_fma_f16 v212, v212, v218, v184
	v_pk_fma_f16 v184, v185, v218, v184
	v_and_b32_e32 v93, 0xf0f0f0f, v93
	v_pk_fma_f16 v53, v184, v215, v53
	v_pk_fma_f16 v49, v184, v216, v49
	v_lshrrev_b32_e32 v184, v204, v183
	v_lshlrev_b32_e32 v184, 4, v184
	v_and_or_b32 v93, v184, 16, v93
	v_lshrrev_b32_e32 v184, v206, v183
	v_lshrrev_b32_e32 v185, v207, v183
	;; [unrolled: 1-line block ×3, first 2 shown]
	v_lshlrev_b32_e32 v184, 12, v184
	v_lshlrev_b32_e32 v185, 20, v185
	;; [unrolled: 1-line block ×3, first 2 shown]
	v_and_or_b32 v184, v184, s38, v93
	v_and_b32_e32 v185, 0x100000, v185
	v_and_b32_e32 v183, 0x10000000, v183
	v_or3_b32 v183, v185, v183, v184
	v_lshrrev_b32_e32 v184, 8, v184
	v_and_b32_e32 v93, 31, v93
	v_and_b32_e32 v184, 31, v184
	v_cvt_f16_u16_e32 v93, v93
	v_cvt_f16_u16_e32 v184, v184
	v_pack_b32_f16 v93, v93, v184
	v_and_b32_sdwa v184, v183, v211 dst_sel:DWORD dst_unused:UNUSED_PAD src0_sel:WORD_1 src1_sel:DWORD
	v_cvt_f16_u16_sdwa v183, v183 dst_sel:DWORD dst_unused:UNUSED_PAD src0_sel:BYTE_3
	v_cvt_f16_u16_e32 v184, v184
	v_mul_u32_u24_sdwa v185, v182, s56 dst_sel:DWORD dst_unused:UNUSED_PAD src0_sel:WORD_0 src1_sel:DWORD
	v_mul_u32_u24_sdwa v182, v182, s56 dst_sel:DWORD dst_unused:UNUSED_PAD src0_sel:WORD_1 src1_sel:DWORD
	v_pack_b32_f16 v183, v184, v183
	v_pk_fma_f16 v93, v93, v185, v182
	v_pk_fma_f16 v182, v183, v185, v182
	;; [unrolled: 1-line block ×8, first 2 shown]
	ds_write_b128 v195, v[52:55]
	ds_write_b128 v195, v[48:51] offset:16
	s_waitcnt vmcnt(3)
	v_ashrrev_i32_e32 v93, v205, v214
	v_and_b32_e32 v93, 0xf0f0f0f, v93
	s_waitcnt vmcnt(0)
	v_lshrrev_b32_e32 v182, v204, v189
	v_lshlrev_b32_e32 v212, 4, v182
	v_lshl_add_u64 v[182:183], s[42:43], 0, v[144:145]
	v_mad_u64_u32 v[184:185], s[12:13], v174, 24, v[182:183]
	v_mad_u64_u32 v[182:183], s[12:13], v172, 24, v[182:183]
	v_lshl_add_u64 v[214:215], v[184:185], 0, v[106:107]
	v_lshl_add_u64 v[216:217], v[182:183], 0, v[108:109]
	global_load_dword v218, v[214:215], off offset:8
	s_nop 0
	global_load_dword v216, v[216:217], off offset:8
	s_nop 0
	global_load_dwordx2 v[182:183], v[182:183], off
	s_nop 0
	global_load_dwordx2 v[184:185], v[184:185], off
	v_and_or_b32 v93, v212, 16, v93
	v_lshrrev_b32_e32 v212, v206, v189
	v_lshrrev_b32_e32 v214, v207, v189
	;; [unrolled: 1-line block ×3, first 2 shown]
	v_lshlrev_b32_e32 v212, 12, v212
	v_lshlrev_b32_e32 v214, 20, v214
	;; [unrolled: 1-line block ×3, first 2 shown]
	v_and_or_b32 v212, v212, s38, v93
	v_and_b32_e32 v214, 0x100000, v214
	v_and_b32_e32 v189, 0x10000000, v189
	v_or3_b32 v189, v214, v189, v212
	v_lshrrev_b32_e32 v212, 8, v212
	v_and_b32_e32 v93, 31, v93
	v_and_b32_e32 v212, 31, v212
	v_cvt_f16_u16_e32 v93, v93
	v_cvt_f16_u16_e32 v212, v212
	v_pack_b32_f16 v93, v93, v212
	v_and_b32_sdwa v212, v189, v211 dst_sel:DWORD dst_unused:UNUSED_PAD src0_sel:WORD_1 src1_sel:DWORD
	v_cvt_f16_u16_sdwa v189, v189 dst_sel:DWORD dst_unused:UNUSED_PAD src0_sel:BYTE_3
	v_cvt_f16_u16_e32 v212, v212
	v_mul_u32_u24_sdwa v214, v188, s56 dst_sel:DWORD dst_unused:UNUSED_PAD src0_sel:WORD_0 src1_sel:DWORD
	v_mul_u32_u24_sdwa v188, v188, s56 dst_sel:DWORD dst_unused:UNUSED_PAD src0_sel:WORD_1 src1_sel:DWORD
	v_pack_b32_f16 v189, v212, v189
	v_pk_fma_f16 v93, v93, v214, v188
	v_pk_fma_f16 v188, v189, v214, v188
	v_pk_fma_f16 v52, v93, v40, v52
	v_pk_fma_f16 v48, v93, v44, v48
	v_pk_fma_f16 v53, v188, v40, v53
	v_pk_fma_f16 v49, v188, v44, v49
	v_ashrrev_i32_e32 v93, v205, v213
	v_lshrrev_b32_e32 v188, v204, v187
	v_and_b32_e32 v93, 0xf0f0f0f, v93
	v_lshlrev_b32_e32 v188, 4, v188
	v_and_or_b32 v93, v188, 16, v93
	v_lshrrev_b32_e32 v188, v206, v187
	v_lshrrev_b32_e32 v189, v207, v187
	;; [unrolled: 1-line block ×3, first 2 shown]
	v_lshlrev_b32_e32 v188, 12, v188
	v_lshlrev_b32_e32 v189, 20, v189
	;; [unrolled: 1-line block ×3, first 2 shown]
	v_and_or_b32 v188, v188, s38, v93
	v_and_b32_e32 v189, 0x100000, v189
	v_and_b32_e32 v187, 0x10000000, v187
	v_or3_b32 v187, v189, v187, v188
	v_lshrrev_b32_e32 v188, 8, v188
	v_and_b32_e32 v93, 31, v93
	v_and_b32_e32 v188, 31, v188
	v_cvt_f16_u16_e32 v93, v93
	v_cvt_f16_u16_e32 v188, v188
	v_pack_b32_f16 v93, v93, v188
	v_and_b32_sdwa v188, v187, v211 dst_sel:DWORD dst_unused:UNUSED_PAD src0_sel:WORD_1 src1_sel:DWORD
	v_cvt_f16_u16_sdwa v187, v187 dst_sel:DWORD dst_unused:UNUSED_PAD src0_sel:BYTE_3
	v_cvt_f16_u16_e32 v188, v188
	v_mul_u32_u24_sdwa v189, v186, s56 dst_sel:DWORD dst_unused:UNUSED_PAD src0_sel:WORD_0 src1_sel:DWORD
	v_mul_u32_u24_sdwa v186, v186, s56 dst_sel:DWORD dst_unused:UNUSED_PAD src0_sel:WORD_1 src1_sel:DWORD
	v_pack_b32_f16 v187, v188, v187
	v_pk_fma_f16 v93, v93, v189, v186
	v_pk_fma_f16 v217, v187, v189, v186
	v_lshl_add_u64 v[186:187], s[42:43], 0, v[146:147]
	v_mad_u64_u32 v[188:189], s[12:13], v174, 24, v[186:187]
	v_lshl_add_u64 v[212:213], v[188:189], 0, v[106:107]
	v_mad_u64_u32 v[186:187], s[12:13], v172, 24, v[186:187]
	v_lshl_add_u64 v[214:215], v[186:187], 0, v[108:109]
	global_load_dword v212, v[212:213], off offset:8
	s_nop 0
	global_load_dword v213, v[214:215], off offset:8
	s_nop 0
	global_load_dwordx2 v[186:187], v[186:187], off
	s_nop 0
	global_load_dwordx2 v[188:189], v[188:189], off
	v_pk_fma_f16 v54, v93, v40, v54
	v_pk_fma_f16 v50, v93, v44, v50
	;; [unrolled: 1-line block ×4, first 2 shown]
	v_mul_u32_u24_sdwa v40, v41, s56 dst_sel:DWORD dst_unused:UNUSED_PAD src0_sel:WORD_0 src1_sel:DWORD
	v_mul_u32_u24_sdwa v44, v45, s56 dst_sel:DWORD dst_unused:UNUSED_PAD src0_sel:WORD_0 src1_sel:DWORD
	ds_write_b128 v195, v[52:55]
	ds_write_b128 v195, v[48:51] offset:16
	s_waitcnt vmcnt(7)
	v_ashrrev_i32_e32 v93, v205, v218
	v_and_b32_e32 v93, 0xf0f0f0f, v93
	s_waitcnt vmcnt(4)
	v_lshrrev_b32_e32 v214, v204, v185
	v_lshlrev_b32_e32 v214, 4, v214
	v_and_or_b32 v93, v214, 16, v93
	v_lshrrev_b32_e32 v214, v206, v185
	v_lshrrev_b32_e32 v215, v207, v185
	;; [unrolled: 1-line block ×3, first 2 shown]
	v_lshlrev_b32_e32 v214, 12, v214
	v_lshlrev_b32_e32 v215, 20, v215
	;; [unrolled: 1-line block ×3, first 2 shown]
	v_and_or_b32 v214, v214, s38, v93
	v_and_b32_e32 v215, 0x100000, v215
	v_and_b32_e32 v185, 0x10000000, v185
	v_or3_b32 v185, v215, v185, v214
	v_lshrrev_b32_e32 v214, 8, v214
	v_and_b32_e32 v93, 31, v93
	v_and_b32_e32 v214, 31, v214
	v_cvt_f16_u16_e32 v93, v93
	v_cvt_f16_u16_e32 v214, v214
	v_pack_b32_f16 v93, v93, v214
	v_and_b32_sdwa v214, v185, v211 dst_sel:DWORD dst_unused:UNUSED_PAD src0_sel:WORD_1 src1_sel:DWORD
	v_cvt_f16_u16_sdwa v185, v185 dst_sel:DWORD dst_unused:UNUSED_PAD src0_sel:BYTE_3
	v_cvt_f16_u16_e32 v214, v214
	v_mul_u32_u24_sdwa v215, v184, s56 dst_sel:DWORD dst_unused:UNUSED_PAD src0_sel:WORD_0 src1_sel:DWORD
	v_mul_u32_u24_sdwa v184, v184, s56 dst_sel:DWORD dst_unused:UNUSED_PAD src0_sel:WORD_1 src1_sel:DWORD
	v_pack_b32_f16 v185, v214, v185
	v_pk_fma_f16 v93, v93, v215, v184
	v_pk_fma_f16 v184, v185, v215, v184
	;; [unrolled: 1-line block ×6, first 2 shown]
	v_ashrrev_i32_e32 v93, v205, v216
	v_lshrrev_b32_e32 v184, v204, v183
	v_and_b32_e32 v93, 0xf0f0f0f, v93
	v_lshlrev_b32_e32 v184, 4, v184
	v_and_or_b32 v93, v184, 16, v93
	v_lshrrev_b32_e32 v184, v206, v183
	v_lshrrev_b32_e32 v185, v207, v183
	;; [unrolled: 1-line block ×3, first 2 shown]
	v_lshlrev_b32_e32 v184, 12, v184
	v_lshlrev_b32_e32 v185, 20, v185
	;; [unrolled: 1-line block ×3, first 2 shown]
	v_and_or_b32 v184, v184, s38, v93
	v_and_b32_e32 v185, 0x100000, v185
	v_and_b32_e32 v183, 0x10000000, v183
	v_or3_b32 v183, v185, v183, v184
	v_lshrrev_b32_e32 v184, 8, v184
	v_and_b32_e32 v93, 31, v93
	v_and_b32_e32 v184, 31, v184
	v_cvt_f16_u16_e32 v93, v93
	v_cvt_f16_u16_e32 v184, v184
	v_pack_b32_f16 v93, v93, v184
	v_and_b32_sdwa v184, v183, v211 dst_sel:DWORD dst_unused:UNUSED_PAD src0_sel:WORD_1 src1_sel:DWORD
	v_cvt_f16_u16_sdwa v183, v183 dst_sel:DWORD dst_unused:UNUSED_PAD src0_sel:BYTE_3
	v_cvt_f16_u16_e32 v184, v184
	v_mul_u32_u24_sdwa v185, v182, s56 dst_sel:DWORD dst_unused:UNUSED_PAD src0_sel:WORD_0 src1_sel:DWORD
	v_mul_u32_u24_sdwa v182, v182, s56 dst_sel:DWORD dst_unused:UNUSED_PAD src0_sel:WORD_1 src1_sel:DWORD
	v_pack_b32_f16 v183, v184, v183
	v_pk_fma_f16 v93, v93, v185, v182
	v_pk_fma_f16 v182, v183, v185, v182
	;; [unrolled: 1-line block ×5, first 2 shown]
	s_waitcnt vmcnt(3)
	v_ashrrev_i32_e32 v40, v205, v212
	v_and_b32_e32 v212, 0xf0f0f0f, v40
	v_mul_u32_u24_sdwa v93, v41, s56 dst_sel:DWORD dst_unused:UNUSED_PAD src0_sel:WORD_1 src1_sel:DWORD
	s_waitcnt vmcnt(0)
	v_lshrrev_b32_e32 v40, v204, v189
	v_lshlrev_b32_e32 v215, 4, v40
	v_lshl_add_u64 v[40:41], s[42:43], 0, v[148:149]
	v_pk_fma_f16 v51, v182, v44, v51
	v_mul_u32_u24_sdwa v214, v45, s56 dst_sel:DWORD dst_unused:UNUSED_PAD src0_sel:WORD_1 src1_sel:DWORD
	v_mad_u64_u32 v[44:45], s[12:13], v174, 24, v[40:41]
	v_mad_u64_u32 v[40:41], s[12:13], v172, 24, v[40:41]
	ds_write_b128 v195, v[52:55]
	ds_write_b128 v195, v[48:51] offset:16
	v_lshl_add_u64 v[182:183], v[44:45], 0, v[106:107]
	v_lshl_add_u64 v[184:185], v[40:41], 0, v[108:109]
	global_load_dword v216, v[182:183], off offset:8
	global_load_dword v217, v[184:185], off offset:8
	s_nop 0
	global_load_dwordx2 v[40:41], v[40:41], off
	s_nop 0
	global_load_dwordx2 v[44:45], v[44:45], off
	v_lshrrev_b32_e32 v183, v206, v189
	v_lshrrev_b32_e32 v184, v207, v189
	;; [unrolled: 1-line block ×3, first 2 shown]
	v_and_or_b32 v182, v215, 16, v212
	v_lshlrev_b32_e32 v183, 12, v183
	v_lshlrev_b32_e32 v184, 20, v184
	;; [unrolled: 1-line block ×3, first 2 shown]
	v_and_or_b32 v183, v183, s38, v182
	v_and_b32_e32 v184, 0x100000, v184
	v_and_b32_e32 v185, 0x10000000, v185
	v_or3_b32 v184, v184, v185, v183
	v_lshrrev_b32_e32 v183, 8, v183
	v_and_b32_e32 v182, 31, v182
	v_and_b32_e32 v183, 31, v183
	v_cvt_f16_u16_e32 v182, v182
	v_cvt_f16_u16_e32 v183, v183
	v_pack_b32_f16 v182, v182, v183
	v_and_b32_sdwa v183, v184, v211 dst_sel:DWORD dst_unused:UNUSED_PAD src0_sel:WORD_1 src1_sel:DWORD
	v_cvt_f16_u16_sdwa v184, v184 dst_sel:DWORD dst_unused:UNUSED_PAD src0_sel:BYTE_3
	v_cvt_f16_u16_e32 v183, v183
	v_mul_u32_u24_sdwa v185, v188, s56 dst_sel:DWORD dst_unused:UNUSED_PAD src0_sel:WORD_0 src1_sel:DWORD
	v_mul_u32_u24_sdwa v188, v188, s56 dst_sel:DWORD dst_unused:UNUSED_PAD src0_sel:WORD_1 src1_sel:DWORD
	v_pack_b32_f16 v183, v183, v184
	v_pk_fma_f16 v182, v182, v185, v188
	v_pk_fma_f16 v183, v183, v185, v188
	;; [unrolled: 1-line block ×6, first 2 shown]
	v_ashrrev_i32_e32 v182, v205, v213
	v_lshrrev_b32_e32 v183, v204, v187
	v_and_b32_e32 v182, 0xf0f0f0f, v182
	v_lshlrev_b32_e32 v183, 4, v183
	v_and_or_b32 v182, v183, 16, v182
	v_lshrrev_b32_e32 v183, v206, v187
	v_lshrrev_b32_e32 v184, v207, v187
	;; [unrolled: 1-line block ×3, first 2 shown]
	v_lshlrev_b32_e32 v183, 12, v183
	v_lshlrev_b32_e32 v184, 20, v184
	;; [unrolled: 1-line block ×3, first 2 shown]
	v_and_or_b32 v183, v183, s38, v182
	v_and_b32_e32 v184, 0x100000, v184
	v_and_b32_e32 v185, 0x10000000, v185
	v_or3_b32 v184, v184, v185, v183
	v_lshrrev_b32_e32 v183, 8, v183
	v_and_b32_e32 v182, 31, v182
	v_and_b32_e32 v183, 31, v183
	v_cvt_f16_u16_e32 v182, v182
	v_cvt_f16_u16_e32 v183, v183
	v_mul_u32_u24_sdwa v185, v186, s56 dst_sel:DWORD dst_unused:UNUSED_PAD src0_sel:WORD_0 src1_sel:DWORD
	v_mul_u32_u24_sdwa v186, v186, s56 dst_sel:DWORD dst_unused:UNUSED_PAD src0_sel:WORD_1 src1_sel:DWORD
	v_pack_b32_f16 v182, v182, v183
	v_pk_fma_f16 v212, v182, v185, v186
	v_and_b32_sdwa v182, v184, v211 dst_sel:DWORD dst_unused:UNUSED_PAD src0_sel:WORD_1 src1_sel:DWORD
	v_cvt_f16_u16_sdwa v183, v184 dst_sel:DWORD dst_unused:UNUSED_PAD src0_sel:BYTE_3
	v_cvt_f16_u16_e32 v182, v182
	v_pack_b32_f16 v182, v182, v183
	v_pk_fma_f16 v213, v182, v185, v186
	v_lshl_add_u64 v[182:183], s[42:43], 0, v[150:151]
	v_mad_u64_u32 v[184:185], s[12:13], v174, 24, v[182:183]
	v_lshl_add_u64 v[186:187], v[184:185], 0, v[106:107]
	v_mad_u64_u32 v[182:183], s[12:13], v172, 24, v[182:183]
	v_lshl_add_u64 v[188:189], v[182:183], 0, v[108:109]
	global_load_dword v186, v[186:187], off offset:8
	s_nop 0
	global_load_dword v215, v[188:189], off offset:8
	s_nop 0
	global_load_dwordx2 v[182:183], v[182:183], off
	s_nop 0
	global_load_dwordx2 v[184:185], v[184:185], off
	v_pk_fma_f16 v54, v212, v93, v54
	v_pk_fma_f16 v50, v212, v214, v50
	;; [unrolled: 1-line block ×4, first 2 shown]
	v_mul_u32_u24_sdwa v93, v42, s56 dst_sel:DWORD dst_unused:UNUSED_PAD src0_sel:WORD_0 src1_sel:DWORD
	v_mul_u32_u24_sdwa v187, v46, s56 dst_sel:DWORD dst_unused:UNUSED_PAD src0_sel:WORD_0 src1_sel:DWORD
	ds_write_b128 v195, v[52:55]
	ds_write_b128 v195, v[48:51] offset:16
	v_mul_u32_u24_sdwa v42, v42, s56 dst_sel:DWORD dst_unused:UNUSED_PAD src0_sel:WORD_1 src1_sel:DWORD
	v_mul_u32_u24_sdwa v46, v46, s56 dst_sel:DWORD dst_unused:UNUSED_PAD src0_sel:WORD_1 src1_sel:DWORD
	s_waitcnt vmcnt(7)
	v_ashrrev_i32_e32 v188, v205, v216
	v_and_b32_e32 v188, 0xf0f0f0f, v188
	s_waitcnt vmcnt(4)
	v_lshrrev_b32_e32 v189, v204, v45
	v_lshlrev_b32_e32 v189, 4, v189
	v_and_or_b32 v188, v189, 16, v188
	v_lshrrev_b32_e32 v189, v206, v45
	v_lshrrev_b32_e32 v212, v207, v45
	;; [unrolled: 1-line block ×3, first 2 shown]
	v_lshlrev_b32_e32 v189, 12, v189
	v_lshlrev_b32_e32 v212, 20, v212
	;; [unrolled: 1-line block ×3, first 2 shown]
	v_and_or_b32 v189, v189, s38, v188
	v_and_b32_e32 v212, 0x100000, v212
	v_and_b32_e32 v45, 0x10000000, v45
	v_or3_b32 v45, v212, v45, v189
	v_lshrrev_b32_e32 v189, 8, v189
	v_and_b32_e32 v188, 31, v188
	v_and_b32_e32 v189, 31, v189
	v_cvt_f16_u16_e32 v188, v188
	v_cvt_f16_u16_e32 v189, v189
	v_pack_b32_f16 v188, v188, v189
	v_and_b32_sdwa v189, v45, v211 dst_sel:DWORD dst_unused:UNUSED_PAD src0_sel:WORD_1 src1_sel:DWORD
	v_cvt_f16_u16_sdwa v45, v45 dst_sel:DWORD dst_unused:UNUSED_PAD src0_sel:BYTE_3
	v_cvt_f16_u16_e32 v189, v189
	v_mul_u32_u24_sdwa v212, v44, s56 dst_sel:DWORD dst_unused:UNUSED_PAD src0_sel:WORD_0 src1_sel:DWORD
	v_mul_u32_u24_sdwa v44, v44, s56 dst_sel:DWORD dst_unused:UNUSED_PAD src0_sel:WORD_1 src1_sel:DWORD
	v_pack_b32_f16 v45, v189, v45
	v_pk_fma_f16 v188, v188, v212, v44
	v_pk_fma_f16 v44, v45, v212, v44
	v_lshrrev_b32_e32 v45, v204, v41
	v_pk_fma_f16 v53, v44, v93, v53
	v_pk_fma_f16 v49, v44, v187, v49
	v_ashrrev_i32_e32 v44, v205, v217
	v_and_b32_e32 v44, 0xf0f0f0f, v44
	v_lshlrev_b32_e32 v45, 4, v45
	v_pk_fma_f16 v52, v188, v93, v52
	v_pk_fma_f16 v48, v188, v187, v48
	v_and_or_b32 v44, v45, 16, v44
	v_lshrrev_b32_e32 v45, v206, v41
	v_lshrrev_b32_e32 v188, v207, v41
	;; [unrolled: 1-line block ×3, first 2 shown]
	v_lshlrev_b32_e32 v45, 12, v45
	v_lshlrev_b32_e32 v188, 20, v188
	;; [unrolled: 1-line block ×3, first 2 shown]
	v_and_or_b32 v45, v45, s38, v44
	v_and_b32_e32 v188, 0x100000, v188
	v_and_b32_e32 v41, 0x10000000, v41
	v_or3_b32 v41, v188, v41, v45
	v_lshrrev_b32_e32 v45, 8, v45
	v_and_b32_e32 v44, 31, v44
	v_and_b32_e32 v45, 31, v45
	v_cvt_f16_u16_e32 v44, v44
	v_cvt_f16_u16_e32 v45, v45
	v_pack_b32_f16 v44, v44, v45
	v_and_b32_sdwa v45, v41, v211 dst_sel:DWORD dst_unused:UNUSED_PAD src0_sel:WORD_1 src1_sel:DWORD
	v_cvt_f16_u16_sdwa v41, v41 dst_sel:DWORD dst_unused:UNUSED_PAD src0_sel:BYTE_3
	v_cvt_f16_u16_e32 v45, v45
	v_mul_u32_u24_sdwa v188, v40, s56 dst_sel:DWORD dst_unused:UNUSED_PAD src0_sel:WORD_0 src1_sel:DWORD
	v_mul_u32_u24_sdwa v40, v40, s56 dst_sel:DWORD dst_unused:UNUSED_PAD src0_sel:WORD_1 src1_sel:DWORD
	v_pack_b32_f16 v41, v45, v41
	v_pk_fma_f16 v44, v44, v188, v40
	v_pk_fma_f16 v40, v41, v188, v40
	;; [unrolled: 1-line block ×5, first 2 shown]
	s_waitcnt vmcnt(3)
	v_ashrrev_i32_e32 v40, v205, v186
	v_and_b32_e32 v93, 0xf0f0f0f, v40
	v_pk_fma_f16 v50, v44, v187, v50
	s_waitcnt vmcnt(0)
	v_lshrrev_b32_e32 v40, v204, v185
	v_lshlrev_b32_e32 v212, 4, v40
	v_lshl_add_u64 v[40:41], s[42:43], 0, v[152:153]
	v_mad_u64_u32 v[44:45], s[12:13], v174, 24, v[40:41]
	ds_write_b128 v195, v[52:55]
	ds_write_b128 v195, v[48:51] offset:16
	v_lshl_add_u64 v[186:187], v[44:45], 0, v[106:107]
	v_mad_u64_u32 v[40:41], s[12:13], v172, 24, v[40:41]
	v_lshl_add_u64 v[188:189], v[40:41], 0, v[108:109]
	global_load_dword v213, v[186:187], off offset:8
	global_load_dword v214, v[188:189], off offset:8
	s_nop 0
	global_load_dwordx2 v[40:41], v[40:41], off
	s_nop 0
	global_load_dwordx2 v[44:45], v[44:45], off
	v_lshrrev_b32_e32 v186, v206, v185
	v_lshrrev_b32_e32 v187, v207, v185
	;; [unrolled: 1-line block ×3, first 2 shown]
	v_and_or_b32 v93, v212, 16, v93
	v_lshlrev_b32_e32 v186, 12, v186
	v_lshlrev_b32_e32 v187, 20, v187
	;; [unrolled: 1-line block ×3, first 2 shown]
	v_and_or_b32 v186, v186, s38, v93
	v_and_b32_e32 v187, 0x100000, v187
	v_and_b32_e32 v185, 0x10000000, v185
	v_or3_b32 v185, v187, v185, v186
	v_lshrrev_b32_e32 v186, 8, v186
	v_and_b32_e32 v93, 31, v93
	v_and_b32_e32 v186, 31, v186
	v_cvt_f16_u16_e32 v93, v93
	v_cvt_f16_u16_e32 v186, v186
	v_pack_b32_f16 v93, v93, v186
	v_and_b32_sdwa v186, v185, v211 dst_sel:DWORD dst_unused:UNUSED_PAD src0_sel:WORD_1 src1_sel:DWORD
	v_cvt_f16_u16_sdwa v185, v185 dst_sel:DWORD dst_unused:UNUSED_PAD src0_sel:BYTE_3
	v_cvt_f16_u16_e32 v186, v186
	v_mul_u32_u24_sdwa v187, v184, s56 dst_sel:DWORD dst_unused:UNUSED_PAD src0_sel:WORD_0 src1_sel:DWORD
	v_mul_u32_u24_sdwa v184, v184, s56 dst_sel:DWORD dst_unused:UNUSED_PAD src0_sel:WORD_1 src1_sel:DWORD
	v_pack_b32_f16 v185, v186, v185
	v_pk_fma_f16 v93, v93, v187, v184
	v_pk_fma_f16 v184, v185, v187, v184
	;; [unrolled: 1-line block ×6, first 2 shown]
	v_ashrrev_i32_e32 v93, v205, v215
	v_lshrrev_b32_e32 v184, v204, v183
	v_and_b32_e32 v93, 0xf0f0f0f, v93
	v_lshlrev_b32_e32 v184, 4, v184
	v_and_or_b32 v93, v184, 16, v93
	v_lshrrev_b32_e32 v184, v206, v183
	v_lshrrev_b32_e32 v185, v207, v183
	v_lshrrev_b32_e32 v183, v208, v183
	v_lshlrev_b32_e32 v184, 12, v184
	v_lshlrev_b32_e32 v185, 20, v185
	;; [unrolled: 1-line block ×3, first 2 shown]
	v_and_or_b32 v184, v184, s38, v93
	v_and_b32_e32 v185, 0x100000, v185
	v_and_b32_e32 v183, 0x10000000, v183
	v_or3_b32 v183, v185, v183, v184
	v_lshrrev_b32_e32 v184, 8, v184
	v_and_b32_e32 v93, 31, v93
	v_and_b32_e32 v184, 31, v184
	v_cvt_f16_u16_e32 v93, v93
	v_cvt_f16_u16_e32 v184, v184
	v_pack_b32_f16 v93, v93, v184
	v_and_b32_sdwa v184, v183, v211 dst_sel:DWORD dst_unused:UNUSED_PAD src0_sel:WORD_1 src1_sel:DWORD
	v_cvt_f16_u16_sdwa v183, v183 dst_sel:DWORD dst_unused:UNUSED_PAD src0_sel:BYTE_3
	v_cvt_f16_u16_e32 v184, v184
	v_mul_u32_u24_sdwa v185, v182, s56 dst_sel:DWORD dst_unused:UNUSED_PAD src0_sel:WORD_0 src1_sel:DWORD
	v_mul_u32_u24_sdwa v182, v182, s56 dst_sel:DWORD dst_unused:UNUSED_PAD src0_sel:WORD_1 src1_sel:DWORD
	v_pack_b32_f16 v183, v184, v183
	v_pk_fma_f16 v93, v93, v185, v182
	v_pk_fma_f16 v212, v183, v185, v182
	v_lshl_add_u64 v[182:183], s[42:43], 0, v[154:155]
	v_mad_u64_u32 v[184:185], s[12:13], v174, 24, v[182:183]
	v_mad_u64_u32 v[182:183], s[12:13], v172, 24, v[182:183]
	v_lshl_add_u64 v[186:187], v[184:185], 0, v[106:107]
	v_lshl_add_u64 v[188:189], v[182:183], 0, v[108:109]
	global_load_dword v186, v[186:187], off offset:8
	s_nop 0
	global_load_dword v188, v[188:189], off offset:8
	s_nop 0
	global_load_dwordx2 v[182:183], v[182:183], off
	s_nop 0
	global_load_dwordx2 v[184:185], v[184:185], off
	v_pk_fma_f16 v54, v93, v42, v54
	v_pk_fma_f16 v50, v93, v46, v50
	;; [unrolled: 1-line block ×4, first 2 shown]
	v_mul_u32_u24_sdwa v42, v43, s56 dst_sel:DWORD dst_unused:UNUSED_PAD src0_sel:WORD_0 src1_sel:DWORD
	v_mul_u32_u24_sdwa v46, v47, s56 dst_sel:DWORD dst_unused:UNUSED_PAD src0_sel:WORD_0 src1_sel:DWORD
	ds_write_b128 v195, v[52:55]
	ds_write_b128 v195, v[48:51] offset:16
	s_waitcnt vmcnt(7)
	v_ashrrev_i32_e32 v93, v205, v213
	v_and_b32_e32 v93, 0xf0f0f0f, v93
	s_waitcnt vmcnt(4)
	v_lshrrev_b32_e32 v187, v204, v45
	v_lshlrev_b32_e32 v187, 4, v187
	v_and_or_b32 v93, v187, 16, v93
	v_lshrrev_b32_e32 v187, v206, v45
	v_lshrrev_b32_e32 v189, v207, v45
	;; [unrolled: 1-line block ×3, first 2 shown]
	v_lshlrev_b32_e32 v187, 12, v187
	v_lshlrev_b32_e32 v189, 20, v189
	;; [unrolled: 1-line block ×3, first 2 shown]
	v_and_or_b32 v187, v187, s38, v93
	v_and_b32_e32 v189, 0x100000, v189
	v_and_b32_e32 v45, 0x10000000, v45
	v_or3_b32 v45, v189, v45, v187
	v_lshrrev_b32_e32 v187, 8, v187
	v_and_b32_e32 v93, 31, v93
	v_and_b32_e32 v187, 31, v187
	v_cvt_f16_u16_e32 v93, v93
	v_cvt_f16_u16_e32 v187, v187
	v_pack_b32_f16 v93, v93, v187
	v_and_b32_sdwa v187, v45, v211 dst_sel:DWORD dst_unused:UNUSED_PAD src0_sel:WORD_1 src1_sel:DWORD
	v_cvt_f16_u16_sdwa v45, v45 dst_sel:DWORD dst_unused:UNUSED_PAD src0_sel:BYTE_3
	v_cvt_f16_u16_e32 v187, v187
	v_mul_u32_u24_sdwa v189, v44, s56 dst_sel:DWORD dst_unused:UNUSED_PAD src0_sel:WORD_0 src1_sel:DWORD
	v_mul_u32_u24_sdwa v44, v44, s56 dst_sel:DWORD dst_unused:UNUSED_PAD src0_sel:WORD_1 src1_sel:DWORD
	v_pack_b32_f16 v45, v187, v45
	v_pk_fma_f16 v93, v93, v189, v44
	v_pk_fma_f16 v44, v45, v189, v44
	v_lshrrev_b32_e32 v45, v204, v41
	v_pk_fma_f16 v53, v44, v42, v53
	v_pk_fma_f16 v49, v44, v46, v49
	v_ashrrev_i32_e32 v44, v205, v214
	v_and_b32_e32 v44, 0xf0f0f0f, v44
	v_lshlrev_b32_e32 v45, 4, v45
	v_pk_fma_f16 v52, v93, v42, v52
	v_pk_fma_f16 v48, v93, v46, v48
	v_and_or_b32 v44, v45, 16, v44
	v_lshrrev_b32_e32 v45, v206, v41
	v_lshrrev_b32_e32 v93, v207, v41
	;; [unrolled: 1-line block ×3, first 2 shown]
	v_lshlrev_b32_e32 v45, 12, v45
	v_lshlrev_b32_e32 v93, 20, v93
	v_lshlrev_b32_e32 v41, 28, v41
	v_and_or_b32 v45, v45, s38, v44
	v_and_b32_e32 v93, 0x100000, v93
	v_and_b32_e32 v41, 0x10000000, v41
	v_or3_b32 v41, v93, v41, v45
	v_lshrrev_b32_e32 v45, 8, v45
	v_and_b32_e32 v44, 31, v44
	v_and_b32_e32 v45, 31, v45
	v_cvt_f16_u16_e32 v44, v44
	v_cvt_f16_u16_e32 v45, v45
	v_pack_b32_f16 v44, v44, v45
	v_and_b32_sdwa v45, v41, v211 dst_sel:DWORD dst_unused:UNUSED_PAD src0_sel:WORD_1 src1_sel:DWORD
	v_cvt_f16_u16_sdwa v41, v41 dst_sel:DWORD dst_unused:UNUSED_PAD src0_sel:BYTE_3
	v_cvt_f16_u16_e32 v45, v45
	v_mul_u32_u24_sdwa v93, v40, s56 dst_sel:DWORD dst_unused:UNUSED_PAD src0_sel:WORD_0 src1_sel:DWORD
	v_mul_u32_u24_sdwa v40, v40, s56 dst_sel:DWORD dst_unused:UNUSED_PAD src0_sel:WORD_1 src1_sel:DWORD
	v_pack_b32_f16 v41, v45, v41
	v_pk_fma_f16 v44, v44, v93, v40
	v_pk_fma_f16 v40, v41, v93, v40
	;; [unrolled: 1-line block ×5, first 2 shown]
	s_waitcnt vmcnt(3)
	v_ashrrev_i32_e32 v40, v205, v186
	v_and_b32_e32 v212, 0xf0f0f0f, v40
	v_pk_fma_f16 v50, v44, v46, v50
	s_waitcnt vmcnt(0)
	v_lshrrev_b32_e32 v40, v204, v185
	v_lshlrev_b32_e32 v213, 4, v40
	v_lshl_add_u64 v[40:41], s[42:43], 0, v[156:157]
	v_mul_u32_u24_sdwa v93, v43, s56 dst_sel:DWORD dst_unused:UNUSED_PAD src0_sel:WORD_1 src1_sel:DWORD
	v_mad_u64_u32 v[42:43], s[12:13], v174, 24, v[40:41]
	ds_write_b128 v195, v[52:55]
	ds_write_b128 v195, v[48:51] offset:16
	v_lshl_add_u64 v[44:45], v[42:43], 0, v[106:107]
	v_mad_u64_u32 v[40:41], s[12:13], v172, 24, v[40:41]
	v_mul_u32_u24_sdwa v189, v47, s56 dst_sel:DWORD dst_unused:UNUSED_PAD src0_sel:WORD_1 src1_sel:DWORD
	v_lshl_add_u64 v[46:47], v[40:41], 0, v[108:109]
	global_load_dword v214, v[44:45], off offset:8
	global_load_dword v215, v[46:47], off offset:8
	global_load_dwordx2 v[186:187], v[40:41], off
	s_nop 0
	global_load_dwordx2 v[44:45], v[42:43], off
	v_lshrrev_b32_e32 v41, v206, v185
	v_lshrrev_b32_e32 v42, v207, v185
	;; [unrolled: 1-line block ×3, first 2 shown]
	v_and_or_b32 v40, v213, 16, v212
	v_lshlrev_b32_e32 v41, 12, v41
	v_lshlrev_b32_e32 v42, 20, v42
	;; [unrolled: 1-line block ×3, first 2 shown]
	v_and_or_b32 v41, v41, s38, v40
	v_and_b32_e32 v42, 0x100000, v42
	v_and_b32_e32 v43, 0x10000000, v43
	v_or3_b32 v42, v42, v43, v41
	v_lshrrev_b32_e32 v41, 8, v41
	v_and_b32_e32 v40, 31, v40
	v_and_b32_e32 v41, 31, v41
	v_cvt_f16_u16_e32 v40, v40
	v_cvt_f16_u16_e32 v41, v41
	v_mul_u32_u24_sdwa v43, v184, s56 dst_sel:DWORD dst_unused:UNUSED_PAD src0_sel:WORD_0 src1_sel:DWORD
	v_mul_u32_u24_sdwa v46, v184, s56 dst_sel:DWORD dst_unused:UNUSED_PAD src0_sel:WORD_1 src1_sel:DWORD
	v_pack_b32_f16 v40, v40, v41
	v_pk_fma_f16 v41, v40, v43, v46
	v_and_b32_sdwa v40, v42, v211 dst_sel:DWORD dst_unused:UNUSED_PAD src0_sel:WORD_1 src1_sel:DWORD
	v_cvt_f16_u16_sdwa v42, v42 dst_sel:DWORD dst_unused:UNUSED_PAD src0_sel:BYTE_3
	v_cvt_f16_u16_e32 v40, v40
	v_pack_b32_f16 v40, v40, v42
	v_pk_fma_f16 v42, v40, v43, v46
	v_pk_fma_f16 v40, v41, v93, v52
	;; [unrolled: 1-line block ×5, first 2 shown]
	v_ashrrev_i32_e32 v42, v205, v188
	v_lshrrev_b32_e32 v43, v204, v183
	v_and_b32_e32 v42, 0xf0f0f0f, v42
	v_lshlrev_b32_e32 v43, 4, v43
	v_and_or_b32 v42, v43, 16, v42
	v_lshrrev_b32_e32 v43, v206, v183
	v_lshrrev_b32_e32 v48, v207, v183
	;; [unrolled: 1-line block ×3, first 2 shown]
	v_lshlrev_b32_e32 v43, 12, v43
	v_lshlrev_b32_e32 v48, 20, v48
	;; [unrolled: 1-line block ×3, first 2 shown]
	v_and_or_b32 v43, v43, s38, v42
	v_and_b32_e32 v48, 0x100000, v48
	v_and_b32_e32 v49, 0x10000000, v49
	v_or3_b32 v48, v48, v49, v43
	v_lshrrev_b32_e32 v43, 8, v43
	v_and_b32_e32 v42, 31, v42
	v_and_b32_e32 v43, 31, v43
	v_cvt_f16_u16_e32 v42, v42
	v_cvt_f16_u16_e32 v43, v43
	v_mul_u32_u24_sdwa v49, v182, s56 dst_sel:DWORD dst_unused:UNUSED_PAD src0_sel:WORD_0 src1_sel:DWORD
	v_mul_u32_u24_sdwa v52, v182, s56 dst_sel:DWORD dst_unused:UNUSED_PAD src0_sel:WORD_1 src1_sel:DWORD
	v_pack_b32_f16 v42, v42, v43
	v_pk_fma_f16 v43, v42, v49, v52
	v_and_b32_sdwa v42, v48, v211 dst_sel:DWORD dst_unused:UNUSED_PAD src0_sel:WORD_1 src1_sel:DWORD
	v_cvt_f16_u16_sdwa v48, v48 dst_sel:DWORD dst_unused:UNUSED_PAD src0_sel:BYTE_3
	v_cvt_f16_u16_e32 v42, v42
	v_pack_b32_f16 v42, v42, v48
	v_pk_fma_f16 v188, v42, v49, v52
	v_lshl_add_u64 v[48:49], s[42:43], 0, v[158:159]
	v_mad_u64_u32 v[52:53], s[12:13], v174, 24, v[48:49]
	v_lshl_add_u64 v[182:183], v[52:53], 0, v[106:107]
	v_mad_u64_u32 v[48:49], s[12:13], v172, 24, v[48:49]
	v_pk_fma_f16 v42, v43, v93, v54
	v_lshl_add_u64 v[184:185], v[48:49], 0, v[108:109]
	global_load_dword v54, v[182:183], off offset:8
	global_load_dword v212, v[184:185], off offset:8
	s_nop 0
	global_load_dwordx2 v[182:183], v[48:49], off
	s_nop 0
	global_load_dwordx2 v[52:53], v[52:53], off
	v_pk_fma_f16 v48, v43, v189, v50
	v_pk_fma_f16 v43, v188, v93, v55
	;; [unrolled: 1-line block ×3, first 2 shown]
	s_waitcnt lgkmcnt(14)
	v_mul_u32_u24_sdwa v50, v32, s56 dst_sel:DWORD dst_unused:UNUSED_PAD src0_sel:WORD_0 src1_sel:DWORD
	v_mul_u32_u24_sdwa v51, v36, s56 dst_sel:DWORD dst_unused:UNUSED_PAD src0_sel:WORD_0 src1_sel:DWORD
	ds_write_b128 v195, v[40:43]
	ds_write_b128 v195, v[46:49] offset:16
	v_mul_u32_u24_sdwa v32, v32, s56 dst_sel:DWORD dst_unused:UNUSED_PAD src0_sel:WORD_1 src1_sel:DWORD
	v_mul_u32_u24_sdwa v36, v36, s56 dst_sel:DWORD dst_unused:UNUSED_PAD src0_sel:WORD_1 src1_sel:DWORD
	s_waitcnt vmcnt(7)
	v_ashrrev_i32_e32 v55, v205, v214
	v_and_b32_e32 v55, 0xf0f0f0f, v55
	s_waitcnt vmcnt(4)
	v_lshrrev_b32_e32 v93, v204, v45
	v_lshlrev_b32_e32 v93, 4, v93
	v_and_or_b32 v55, v93, 16, v55
	v_lshrrev_b32_e32 v93, v206, v45
	v_lshrrev_b32_e32 v184, v207, v45
	;; [unrolled: 1-line block ×3, first 2 shown]
	v_lshlrev_b32_e32 v93, 12, v93
	v_lshlrev_b32_e32 v184, 20, v184
	;; [unrolled: 1-line block ×3, first 2 shown]
	v_and_or_b32 v93, v93, s38, v55
	v_and_b32_e32 v184, 0x100000, v184
	v_and_b32_e32 v45, 0x10000000, v45
	v_or3_b32 v45, v184, v45, v93
	v_lshrrev_b32_e32 v93, 8, v93
	v_and_b32_e32 v55, 31, v55
	v_and_b32_e32 v93, 31, v93
	v_cvt_f16_u16_e32 v55, v55
	v_cvt_f16_u16_e32 v93, v93
	v_pack_b32_f16 v55, v55, v93
	v_and_b32_sdwa v93, v45, v211 dst_sel:DWORD dst_unused:UNUSED_PAD src0_sel:WORD_1 src1_sel:DWORD
	v_cvt_f16_u16_sdwa v45, v45 dst_sel:DWORD dst_unused:UNUSED_PAD src0_sel:BYTE_3
	v_cvt_f16_u16_e32 v93, v93
	v_mul_u32_u24_sdwa v184, v44, s56 dst_sel:DWORD dst_unused:UNUSED_PAD src0_sel:WORD_0 src1_sel:DWORD
	v_mul_u32_u24_sdwa v44, v44, s56 dst_sel:DWORD dst_unused:UNUSED_PAD src0_sel:WORD_1 src1_sel:DWORD
	v_pack_b32_f16 v45, v93, v45
	v_pk_fma_f16 v55, v55, v184, v44
	v_pk_fma_f16 v93, v45, v184, v44
	;; [unrolled: 1-line block ×6, first 2 shown]
	v_ashrrev_i32_e32 v46, v205, v215
	v_lshrrev_b32_e32 v47, v204, v187
	v_and_b32_e32 v46, 0xf0f0f0f, v46
	v_lshlrev_b32_e32 v47, 4, v47
	v_and_or_b32 v46, v47, 16, v46
	v_lshrrev_b32_e32 v47, v206, v187
	v_lshrrev_b32_e32 v55, v207, v187
	;; [unrolled: 1-line block ×3, first 2 shown]
	v_lshlrev_b32_e32 v47, 12, v47
	v_lshlrev_b32_e32 v55, 20, v55
	;; [unrolled: 1-line block ×3, first 2 shown]
	v_and_or_b32 v47, v47, s38, v46
	v_and_b32_e32 v55, 0x100000, v55
	v_and_b32_e32 v93, 0x10000000, v93
	v_or3_b32 v55, v55, v93, v47
	v_lshrrev_b32_e32 v47, 8, v47
	v_and_b32_e32 v46, 31, v46
	v_and_b32_e32 v47, 31, v47
	v_cvt_f16_u16_e32 v46, v46
	v_cvt_f16_u16_e32 v47, v47
	v_mul_u32_u24_sdwa v93, v186, s56 dst_sel:DWORD dst_unused:UNUSED_PAD src0_sel:WORD_0 src1_sel:DWORD
	v_mul_u32_u24_sdwa v184, v186, s56 dst_sel:DWORD dst_unused:UNUSED_PAD src0_sel:WORD_1 src1_sel:DWORD
	v_pack_b32_f16 v46, v46, v47
	v_pk_fma_f16 v47, v46, v93, v184
	v_and_b32_sdwa v46, v55, v211 dst_sel:DWORD dst_unused:UNUSED_PAD src0_sel:WORD_1 src1_sel:DWORD
	v_cvt_f16_u16_sdwa v55, v55 dst_sel:DWORD dst_unused:UNUSED_PAD src0_sel:BYTE_3
	v_cvt_f16_u16_e32 v46, v46
	v_pack_b32_f16 v46, v46, v55
	v_pk_fma_f16 v55, v46, v93, v184
	v_pk_fma_f16 v46, v47, v50, v42
	;; [unrolled: 1-line block ×5, first 2 shown]
	s_waitcnt vmcnt(3)
	v_ashrrev_i32_e32 v48, v205, v54
	v_and_b32_e32 v93, 0xf0f0f0f, v48
	ds_write_b128 v195, v[44:47]
	s_waitcnt vmcnt(0)
	v_lshrrev_b32_e32 v48, v204, v53
	v_lshlrev_b32_e32 v186, 4, v48
	v_lshl_add_u64 v[48:49], s[42:43], 0, v[160:161]
	v_mad_u64_u32 v[50:51], s[12:13], v174, 24, v[48:49]
	ds_write_b128 v195, v[40:43] offset:16
	v_lshl_add_u64 v[54:55], v[50:51], 0, v[106:107]
	v_mad_u64_u32 v[48:49], s[12:13], v172, 24, v[48:49]
	v_lshl_add_u64 v[184:185], v[48:49], 0, v[108:109]
	global_load_dword v187, v[54:55], off offset:8
	global_load_dword v188, v[184:185], off offset:8
	s_nop 0
	global_load_dwordx2 v[48:49], v[48:49], off
	s_nop 0
	global_load_dwordx2 v[50:51], v[50:51], off
	v_and_or_b32 v54, v186, 16, v93
	v_lshrrev_b32_e32 v55, v206, v53
	v_lshrrev_b32_e32 v93, v207, v53
	;; [unrolled: 1-line block ×3, first 2 shown]
	v_lshlrev_b32_e32 v55, 12, v55
	v_lshlrev_b32_e32 v93, 20, v93
	;; [unrolled: 1-line block ×3, first 2 shown]
	v_and_or_b32 v55, v55, s38, v54
	v_and_b32_e32 v93, 0x100000, v93
	v_and_b32_e32 v53, 0x10000000, v53
	v_or3_b32 v53, v93, v53, v55
	v_lshrrev_b32_e32 v55, 8, v55
	v_and_b32_e32 v54, 31, v54
	v_and_b32_e32 v55, 31, v55
	v_cvt_f16_u16_e32 v54, v54
	v_cvt_f16_u16_e32 v55, v55
	v_pack_b32_f16 v54, v54, v55
	v_and_b32_sdwa v55, v53, v211 dst_sel:DWORD dst_unused:UNUSED_PAD src0_sel:WORD_1 src1_sel:DWORD
	v_cvt_f16_u16_sdwa v53, v53 dst_sel:DWORD dst_unused:UNUSED_PAD src0_sel:BYTE_3
	v_cvt_f16_u16_e32 v55, v55
	v_mul_u32_u24_sdwa v93, v52, s56 dst_sel:DWORD dst_unused:UNUSED_PAD src0_sel:WORD_0 src1_sel:DWORD
	v_mul_u32_u24_sdwa v52, v52, s56 dst_sel:DWORD dst_unused:UNUSED_PAD src0_sel:WORD_1 src1_sel:DWORD
	v_pack_b32_f16 v53, v55, v53
	v_pk_fma_f16 v54, v54, v93, v52
	v_pk_fma_f16 v52, v53, v93, v52
	v_lshrrev_b32_e32 v53, v204, v183
	v_pk_fma_f16 v45, v52, v32, v45
	v_pk_fma_f16 v41, v52, v36, v41
	v_ashrrev_i32_e32 v52, v205, v212
	v_and_b32_e32 v52, 0xf0f0f0f, v52
	v_lshlrev_b32_e32 v53, 4, v53
	v_pk_fma_f16 v44, v54, v32, v44
	v_pk_fma_f16 v40, v54, v36, v40
	v_and_or_b32 v52, v53, 16, v52
	v_lshrrev_b32_e32 v53, v206, v183
	v_lshrrev_b32_e32 v54, v207, v183
	;; [unrolled: 1-line block ×3, first 2 shown]
	v_lshlrev_b32_e32 v53, 12, v53
	v_lshlrev_b32_e32 v54, 20, v54
	;; [unrolled: 1-line block ×3, first 2 shown]
	v_and_or_b32 v53, v53, s38, v52
	v_and_b32_e32 v54, 0x100000, v54
	v_and_b32_e32 v55, 0x10000000, v55
	v_or3_b32 v54, v54, v55, v53
	v_lshrrev_b32_e32 v53, 8, v53
	v_and_b32_e32 v52, 31, v52
	v_and_b32_e32 v53, 31, v53
	v_cvt_f16_u16_e32 v52, v52
	v_cvt_f16_u16_e32 v53, v53
	v_mul_u32_u24_sdwa v55, v182, s56 dst_sel:DWORD dst_unused:UNUSED_PAD src0_sel:WORD_0 src1_sel:DWORD
	v_mul_u32_u24_sdwa v93, v182, s56 dst_sel:DWORD dst_unused:UNUSED_PAD src0_sel:WORD_1 src1_sel:DWORD
	v_pack_b32_f16 v52, v52, v53
	v_pk_fma_f16 v186, v52, v55, v93
	v_and_b32_sdwa v52, v54, v211 dst_sel:DWORD dst_unused:UNUSED_PAD src0_sel:WORD_1 src1_sel:DWORD
	v_cvt_f16_u16_sdwa v53, v54 dst_sel:DWORD dst_unused:UNUSED_PAD src0_sel:BYTE_3
	v_cvt_f16_u16_e32 v52, v52
	v_pack_b32_f16 v52, v52, v53
	v_pk_fma_f16 v93, v52, v55, v93
	v_lshl_add_u64 v[52:53], s[42:43], 0, v[162:163]
	v_mad_u64_u32 v[54:55], s[12:13], v174, 24, v[52:53]
	v_lshl_add_u64 v[182:183], v[54:55], 0, v[106:107]
	v_mad_u64_u32 v[52:53], s[12:13], v172, 24, v[52:53]
	v_lshl_add_u64 v[184:185], v[52:53], 0, v[108:109]
	global_load_dword v182, v[182:183], off offset:8
	s_nop 0
	global_load_dword v183, v[184:185], off offset:8
	s_nop 0
	global_load_dwordx2 v[52:53], v[52:53], off
	s_nop 0
	global_load_dwordx2 v[54:55], v[54:55], off
	v_pk_fma_f16 v47, v93, v32, v47
	v_pk_fma_f16 v43, v93, v36, v43
	;; [unrolled: 1-line block ×4, first 2 shown]
	v_mul_u32_u24_sdwa v32, v33, s56 dst_sel:DWORD dst_unused:UNUSED_PAD src0_sel:WORD_0 src1_sel:DWORD
	v_mul_u32_u24_sdwa v36, v37, s56 dst_sel:DWORD dst_unused:UNUSED_PAD src0_sel:WORD_0 src1_sel:DWORD
	ds_write_b128 v195, v[44:47]
	ds_write_b128 v195, v[40:43] offset:16
	s_waitcnt vmcnt(7)
	v_ashrrev_i32_e32 v93, v205, v187
	v_and_b32_e32 v93, 0xf0f0f0f, v93
	s_waitcnt vmcnt(4)
	v_lshrrev_b32_e32 v184, v204, v51
	v_lshlrev_b32_e32 v184, 4, v184
	v_and_or_b32 v93, v184, 16, v93
	v_lshrrev_b32_e32 v184, v206, v51
	v_lshrrev_b32_e32 v185, v207, v51
	;; [unrolled: 1-line block ×3, first 2 shown]
	v_lshlrev_b32_e32 v184, 12, v184
	v_lshlrev_b32_e32 v185, 20, v185
	;; [unrolled: 1-line block ×3, first 2 shown]
	v_and_or_b32 v184, v184, s38, v93
	v_and_b32_e32 v185, 0x100000, v185
	v_and_b32_e32 v51, 0x10000000, v51
	v_or3_b32 v51, v185, v51, v184
	v_lshrrev_b32_e32 v184, 8, v184
	v_and_b32_e32 v93, 31, v93
	v_and_b32_e32 v184, 31, v184
	v_cvt_f16_u16_e32 v93, v93
	v_cvt_f16_u16_e32 v184, v184
	v_pack_b32_f16 v93, v93, v184
	v_and_b32_sdwa v184, v51, v211 dst_sel:DWORD dst_unused:UNUSED_PAD src0_sel:WORD_1 src1_sel:DWORD
	v_cvt_f16_u16_sdwa v51, v51 dst_sel:DWORD dst_unused:UNUSED_PAD src0_sel:BYTE_3
	v_cvt_f16_u16_e32 v184, v184
	v_mul_u32_u24_sdwa v185, v50, s56 dst_sel:DWORD dst_unused:UNUSED_PAD src0_sel:WORD_0 src1_sel:DWORD
	v_mul_u32_u24_sdwa v50, v50, s56 dst_sel:DWORD dst_unused:UNUSED_PAD src0_sel:WORD_1 src1_sel:DWORD
	v_pack_b32_f16 v51, v184, v51
	v_pk_fma_f16 v93, v93, v185, v50
	v_pk_fma_f16 v50, v51, v185, v50
	v_lshrrev_b32_e32 v51, v204, v49
	v_pk_fma_f16 v45, v50, v32, v45
	v_pk_fma_f16 v41, v50, v36, v41
	v_ashrrev_i32_e32 v50, v205, v188
	v_and_b32_e32 v50, 0xf0f0f0f, v50
	v_lshlrev_b32_e32 v51, 4, v51
	v_pk_fma_f16 v44, v93, v32, v44
	v_pk_fma_f16 v40, v93, v36, v40
	v_and_or_b32 v50, v51, 16, v50
	v_lshrrev_b32_e32 v51, v206, v49
	v_lshrrev_b32_e32 v93, v207, v49
	;; [unrolled: 1-line block ×3, first 2 shown]
	v_lshlrev_b32_e32 v51, 12, v51
	v_lshlrev_b32_e32 v93, 20, v93
	;; [unrolled: 1-line block ×3, first 2 shown]
	v_and_or_b32 v51, v51, s38, v50
	v_and_b32_e32 v93, 0x100000, v93
	v_and_b32_e32 v49, 0x10000000, v49
	v_or3_b32 v49, v93, v49, v51
	v_lshrrev_b32_e32 v51, 8, v51
	v_and_b32_e32 v50, 31, v50
	v_and_b32_e32 v51, 31, v51
	v_cvt_f16_u16_e32 v50, v50
	v_cvt_f16_u16_e32 v51, v51
	v_pack_b32_f16 v50, v50, v51
	v_and_b32_sdwa v51, v49, v211 dst_sel:DWORD dst_unused:UNUSED_PAD src0_sel:WORD_1 src1_sel:DWORD
	v_cvt_f16_u16_sdwa v49, v49 dst_sel:DWORD dst_unused:UNUSED_PAD src0_sel:BYTE_3
	v_cvt_f16_u16_e32 v51, v51
	v_mul_u32_u24_sdwa v93, v48, s56 dst_sel:DWORD dst_unused:UNUSED_PAD src0_sel:WORD_0 src1_sel:DWORD
	v_mul_u32_u24_sdwa v48, v48, s56 dst_sel:DWORD dst_unused:UNUSED_PAD src0_sel:WORD_1 src1_sel:DWORD
	v_pack_b32_f16 v49, v51, v49
	v_pk_fma_f16 v50, v50, v93, v48
	v_pk_fma_f16 v48, v49, v93, v48
	;; [unrolled: 1-line block ×4, first 2 shown]
	v_mul_u32_u24_sdwa v93, v33, s56 dst_sel:DWORD dst_unused:UNUSED_PAD src0_sel:WORD_1 src1_sel:DWORD
	s_waitcnt vmcnt(3)
	v_ashrrev_i32_e32 v32, v205, v182
	v_and_b32_e32 v182, 0xf0f0f0f, v32
	v_pk_fma_f16 v42, v50, v36, v42
	s_waitcnt vmcnt(0)
	v_lshrrev_b32_e32 v32, v204, v55
	v_lshlrev_b32_e32 v185, 4, v32
	v_lshl_add_u64 v[32:33], s[42:43], 0, v[164:165]
	v_pk_fma_f16 v43, v48, v36, v43
	v_mul_u32_u24_sdwa v184, v37, s56 dst_sel:DWORD dst_unused:UNUSED_PAD src0_sel:WORD_1 src1_sel:DWORD
	v_mad_u64_u32 v[36:37], s[12:13], v174, 24, v[32:33]
	v_mad_u64_u32 v[32:33], s[12:13], v172, 24, v[32:33]
	ds_write_b128 v195, v[44:47]
	ds_write_b128 v195, v[40:43] offset:16
	v_lshl_add_u64 v[48:49], v[36:37], 0, v[106:107]
	v_lshl_add_u64 v[50:51], v[32:33], 0, v[108:109]
	global_load_dword v186, v[48:49], off offset:8
	global_load_dword v187, v[50:51], off offset:8
	s_nop 0
	global_load_dwordx2 v[32:33], v[32:33], off
	s_nop 0
	global_load_dwordx2 v[36:37], v[36:37], off
	v_lshrrev_b32_e32 v49, v206, v55
	v_lshrrev_b32_e32 v50, v207, v55
	;; [unrolled: 1-line block ×3, first 2 shown]
	v_and_or_b32 v48, v185, 16, v182
	v_lshlrev_b32_e32 v49, 12, v49
	v_lshlrev_b32_e32 v50, 20, v50
	;; [unrolled: 1-line block ×3, first 2 shown]
	v_and_or_b32 v49, v49, s38, v48
	v_and_b32_e32 v50, 0x100000, v50
	v_and_b32_e32 v51, 0x10000000, v51
	v_or3_b32 v50, v50, v51, v49
	v_lshrrev_b32_e32 v49, 8, v49
	v_and_b32_e32 v48, 31, v48
	v_and_b32_e32 v49, 31, v49
	v_cvt_f16_u16_e32 v48, v48
	v_cvt_f16_u16_e32 v49, v49
	v_pack_b32_f16 v48, v48, v49
	v_and_b32_sdwa v49, v50, v211 dst_sel:DWORD dst_unused:UNUSED_PAD src0_sel:WORD_1 src1_sel:DWORD
	v_cvt_f16_u16_sdwa v50, v50 dst_sel:DWORD dst_unused:UNUSED_PAD src0_sel:BYTE_3
	v_cvt_f16_u16_e32 v49, v49
	v_mul_u32_u24_sdwa v51, v54, s56 dst_sel:DWORD dst_unused:UNUSED_PAD src0_sel:WORD_0 src1_sel:DWORD
	v_mul_u32_u24_sdwa v54, v54, s56 dst_sel:DWORD dst_unused:UNUSED_PAD src0_sel:WORD_1 src1_sel:DWORD
	v_pack_b32_f16 v49, v49, v50
	v_pk_fma_f16 v48, v48, v51, v54
	v_pk_fma_f16 v49, v49, v51, v54
	;; [unrolled: 1-line block ×6, first 2 shown]
	v_ashrrev_i32_e32 v48, v205, v183
	v_lshrrev_b32_e32 v49, v204, v53
	v_and_b32_e32 v48, 0xf0f0f0f, v48
	v_lshlrev_b32_e32 v49, 4, v49
	v_and_or_b32 v48, v49, 16, v48
	v_lshrrev_b32_e32 v49, v206, v53
	v_lshrrev_b32_e32 v50, v207, v53
	;; [unrolled: 1-line block ×3, first 2 shown]
	v_lshlrev_b32_e32 v49, 12, v49
	v_lshlrev_b32_e32 v50, 20, v50
	;; [unrolled: 1-line block ×3, first 2 shown]
	v_and_or_b32 v49, v49, s38, v48
	v_and_b32_e32 v50, 0x100000, v50
	v_and_b32_e32 v51, 0x10000000, v51
	v_or3_b32 v50, v50, v51, v49
	v_lshrrev_b32_e32 v49, 8, v49
	v_and_b32_e32 v48, 31, v48
	v_and_b32_e32 v49, 31, v49
	v_cvt_f16_u16_e32 v48, v48
	v_cvt_f16_u16_e32 v49, v49
	v_mul_u32_u24_sdwa v51, v52, s56 dst_sel:DWORD dst_unused:UNUSED_PAD src0_sel:WORD_0 src1_sel:DWORD
	v_mul_u32_u24_sdwa v52, v52, s56 dst_sel:DWORD dst_unused:UNUSED_PAD src0_sel:WORD_1 src1_sel:DWORD
	v_pack_b32_f16 v48, v48, v49
	v_pk_fma_f16 v182, v48, v51, v52
	v_and_b32_sdwa v48, v50, v211 dst_sel:DWORD dst_unused:UNUSED_PAD src0_sel:WORD_1 src1_sel:DWORD
	v_cvt_f16_u16_sdwa v49, v50 dst_sel:DWORD dst_unused:UNUSED_PAD src0_sel:BYTE_3
	v_cvt_f16_u16_e32 v48, v48
	v_pack_b32_f16 v48, v48, v49
	v_pk_fma_f16 v183, v48, v51, v52
	v_lshl_add_u64 v[48:49], s[42:43], 0, v[166:167]
	v_mad_u64_u32 v[50:51], s[12:13], v174, 24, v[48:49]
	v_lshl_add_u64 v[52:53], v[50:51], 0, v[106:107]
	v_mad_u64_u32 v[48:49], s[12:13], v172, 24, v[48:49]
	v_lshl_add_u64 v[54:55], v[48:49], 0, v[108:109]
	global_load_dword v52, v[52:53], off offset:8
	s_nop 0
	global_load_dword v185, v[54:55], off offset:8
	s_nop 0
	global_load_dwordx2 v[48:49], v[48:49], off
	s_nop 0
	global_load_dwordx2 v[50:51], v[50:51], off
	v_pk_fma_f16 v46, v182, v93, v46
	v_pk_fma_f16 v47, v183, v93, v47
	;; [unrolled: 1-line block ×4, first 2 shown]
	v_mul_u32_u24_sdwa v53, v34, s56 dst_sel:DWORD dst_unused:UNUSED_PAD src0_sel:WORD_0 src1_sel:DWORD
	v_mul_u32_u24_sdwa v54, v38, s56 dst_sel:DWORD dst_unused:UNUSED_PAD src0_sel:WORD_0 src1_sel:DWORD
	ds_write_b128 v195, v[44:47]
	ds_write_b128 v195, v[40:43] offset:16
	v_mul_u32_u24_sdwa v34, v34, s56 dst_sel:DWORD dst_unused:UNUSED_PAD src0_sel:WORD_1 src1_sel:DWORD
	v_mul_u32_u24_sdwa v38, v38, s56 dst_sel:DWORD dst_unused:UNUSED_PAD src0_sel:WORD_1 src1_sel:DWORD
	s_waitcnt vmcnt(7)
	v_ashrrev_i32_e32 v55, v205, v186
	v_and_b32_e32 v55, 0xf0f0f0f, v55
	s_waitcnt vmcnt(4)
	v_lshrrev_b32_e32 v93, v204, v37
	v_lshlrev_b32_e32 v93, 4, v93
	v_and_or_b32 v55, v93, 16, v55
	v_lshrrev_b32_e32 v93, v206, v37
	v_lshrrev_b32_e32 v182, v207, v37
	;; [unrolled: 1-line block ×3, first 2 shown]
	v_lshlrev_b32_e32 v93, 12, v93
	v_lshlrev_b32_e32 v182, 20, v182
	v_lshlrev_b32_e32 v37, 28, v37
	v_and_or_b32 v93, v93, s38, v55
	v_and_b32_e32 v182, 0x100000, v182
	v_and_b32_e32 v37, 0x10000000, v37
	v_or3_b32 v37, v182, v37, v93
	v_lshrrev_b32_e32 v93, 8, v93
	v_and_b32_e32 v55, 31, v55
	v_and_b32_e32 v93, 31, v93
	v_cvt_f16_u16_e32 v55, v55
	v_cvt_f16_u16_e32 v93, v93
	v_pack_b32_f16 v55, v55, v93
	v_and_b32_sdwa v93, v37, v211 dst_sel:DWORD dst_unused:UNUSED_PAD src0_sel:WORD_1 src1_sel:DWORD
	v_cvt_f16_u16_sdwa v37, v37 dst_sel:DWORD dst_unused:UNUSED_PAD src0_sel:BYTE_3
	v_cvt_f16_u16_e32 v93, v93
	v_mul_u32_u24_sdwa v182, v36, s56 dst_sel:DWORD dst_unused:UNUSED_PAD src0_sel:WORD_0 src1_sel:DWORD
	v_mul_u32_u24_sdwa v36, v36, s56 dst_sel:DWORD dst_unused:UNUSED_PAD src0_sel:WORD_1 src1_sel:DWORD
	v_pack_b32_f16 v37, v93, v37
	v_pk_fma_f16 v55, v55, v182, v36
	v_pk_fma_f16 v36, v37, v182, v36
	v_lshrrev_b32_e32 v37, v204, v33
	v_pk_fma_f16 v45, v36, v53, v45
	v_pk_fma_f16 v41, v36, v54, v41
	v_ashrrev_i32_e32 v36, v205, v187
	v_and_b32_e32 v36, 0xf0f0f0f, v36
	v_lshlrev_b32_e32 v37, 4, v37
	v_pk_fma_f16 v44, v55, v53, v44
	v_pk_fma_f16 v40, v55, v54, v40
	v_and_or_b32 v36, v37, 16, v36
	v_lshrrev_b32_e32 v37, v206, v33
	v_lshrrev_b32_e32 v55, v207, v33
	;; [unrolled: 1-line block ×3, first 2 shown]
	v_lshlrev_b32_e32 v37, 12, v37
	v_lshlrev_b32_e32 v55, 20, v55
	;; [unrolled: 1-line block ×3, first 2 shown]
	v_and_or_b32 v37, v37, s38, v36
	v_and_b32_e32 v55, 0x100000, v55
	v_and_b32_e32 v33, 0x10000000, v33
	v_or3_b32 v33, v55, v33, v37
	v_lshrrev_b32_e32 v37, 8, v37
	v_and_b32_e32 v36, 31, v36
	v_and_b32_e32 v37, 31, v37
	v_cvt_f16_u16_e32 v36, v36
	v_cvt_f16_u16_e32 v37, v37
	v_pack_b32_f16 v36, v36, v37
	v_and_b32_sdwa v37, v33, v211 dst_sel:DWORD dst_unused:UNUSED_PAD src0_sel:WORD_1 src1_sel:DWORD
	v_cvt_f16_u16_sdwa v33, v33 dst_sel:DWORD dst_unused:UNUSED_PAD src0_sel:BYTE_3
	v_cvt_f16_u16_e32 v37, v37
	v_mul_u32_u24_sdwa v55, v32, s56 dst_sel:DWORD dst_unused:UNUSED_PAD src0_sel:WORD_0 src1_sel:DWORD
	v_mul_u32_u24_sdwa v32, v32, s56 dst_sel:DWORD dst_unused:UNUSED_PAD src0_sel:WORD_1 src1_sel:DWORD
	v_pack_b32_f16 v33, v37, v33
	v_pk_fma_f16 v36, v36, v55, v32
	v_pk_fma_f16 v32, v33, v55, v32
	;; [unrolled: 1-line block ×5, first 2 shown]
	s_waitcnt vmcnt(3)
	v_ashrrev_i32_e32 v32, v205, v52
	v_and_b32_e32 v93, 0xf0f0f0f, v32
	v_pk_fma_f16 v42, v36, v54, v42
	s_waitcnt vmcnt(0)
	v_lshrrev_b32_e32 v32, v204, v51
	v_lshlrev_b32_e32 v182, 4, v32
	v_lshl_add_u64 v[32:33], s[42:43], 0, v[168:169]
	v_mad_u64_u32 v[36:37], s[12:13], v174, 24, v[32:33]
	v_mad_u64_u32 v[32:33], s[12:13], v172, 24, v[32:33]
	ds_write_b128 v195, v[44:47]
	ds_write_b128 v195, v[40:43] offset:16
	v_lshl_add_u64 v[52:53], v[36:37], 0, v[106:107]
	v_lshl_add_u64 v[54:55], v[32:33], 0, v[108:109]
	global_load_dword v183, v[52:53], off offset:8
	global_load_dword v184, v[54:55], off offset:8
	s_nop 0
	global_load_dwordx2 v[32:33], v[32:33], off
	s_nop 0
	global_load_dwordx2 v[36:37], v[36:37], off
	v_lshrrev_b32_e32 v53, v206, v51
	v_lshrrev_b32_e32 v54, v207, v51
	;; [unrolled: 1-line block ×3, first 2 shown]
	v_and_or_b32 v52, v182, 16, v93
	v_lshlrev_b32_e32 v53, 12, v53
	v_lshlrev_b32_e32 v54, 20, v54
	;; [unrolled: 1-line block ×3, first 2 shown]
	v_and_or_b32 v53, v53, s38, v52
	v_and_b32_e32 v54, 0x100000, v54
	v_and_b32_e32 v51, 0x10000000, v51
	v_or3_b32 v51, v54, v51, v53
	v_lshrrev_b32_e32 v53, 8, v53
	v_and_b32_e32 v52, 31, v52
	v_and_b32_e32 v53, 31, v53
	v_cvt_f16_u16_e32 v52, v52
	v_cvt_f16_u16_e32 v53, v53
	v_pack_b32_f16 v52, v52, v53
	v_and_b32_sdwa v53, v51, v211 dst_sel:DWORD dst_unused:UNUSED_PAD src0_sel:WORD_1 src1_sel:DWORD
	v_cvt_f16_u16_sdwa v51, v51 dst_sel:DWORD dst_unused:UNUSED_PAD src0_sel:BYTE_3
	v_cvt_f16_u16_e32 v53, v53
	v_mul_u32_u24_sdwa v54, v50, s56 dst_sel:DWORD dst_unused:UNUSED_PAD src0_sel:WORD_0 src1_sel:DWORD
	v_mul_u32_u24_sdwa v50, v50, s56 dst_sel:DWORD dst_unused:UNUSED_PAD src0_sel:WORD_1 src1_sel:DWORD
	v_pack_b32_f16 v51, v53, v51
	v_pk_fma_f16 v52, v52, v54, v50
	v_pk_fma_f16 v50, v51, v54, v50
	v_lshrrev_b32_e32 v51, v204, v49
	v_pk_fma_f16 v45, v50, v34, v45
	v_pk_fma_f16 v41, v50, v38, v41
	v_ashrrev_i32_e32 v50, v205, v185
	v_and_b32_e32 v50, 0xf0f0f0f, v50
	v_lshlrev_b32_e32 v51, 4, v51
	v_pk_fma_f16 v44, v52, v34, v44
	v_pk_fma_f16 v40, v52, v38, v40
	v_and_or_b32 v50, v51, 16, v50
	v_lshrrev_b32_e32 v51, v206, v49
	v_lshrrev_b32_e32 v52, v207, v49
	;; [unrolled: 1-line block ×3, first 2 shown]
	v_lshlrev_b32_e32 v51, 12, v51
	v_lshlrev_b32_e32 v52, 20, v52
	;; [unrolled: 1-line block ×3, first 2 shown]
	v_and_or_b32 v51, v51, s38, v50
	v_and_b32_e32 v52, 0x100000, v52
	v_and_b32_e32 v49, 0x10000000, v49
	v_or3_b32 v49, v52, v49, v51
	v_lshrrev_b32_e32 v51, 8, v51
	v_and_b32_e32 v50, 31, v50
	v_and_b32_e32 v51, 31, v51
	v_cvt_f16_u16_e32 v50, v50
	v_cvt_f16_u16_e32 v51, v51
	v_mul_u32_u24_sdwa v52, v48, s56 dst_sel:DWORD dst_unused:UNUSED_PAD src0_sel:WORD_0 src1_sel:DWORD
	v_mul_u32_u24_sdwa v48, v48, s56 dst_sel:DWORD dst_unused:UNUSED_PAD src0_sel:WORD_1 src1_sel:DWORD
	v_pack_b32_f16 v50, v50, v51
	v_pk_fma_f16 v93, v50, v52, v48
	v_and_b32_sdwa v50, v49, v211 dst_sel:DWORD dst_unused:UNUSED_PAD src0_sel:WORD_1 src1_sel:DWORD
	v_cvt_f16_u16_sdwa v49, v49 dst_sel:DWORD dst_unused:UNUSED_PAD src0_sel:BYTE_3
	v_cvt_f16_u16_e32 v50, v50
	v_pack_b32_f16 v49, v50, v49
	v_pk_fma_f16 v182, v49, v52, v48
	v_lshl_add_u64 v[48:49], s[42:43], 0, v[170:171]
	v_mad_u64_u32 v[50:51], s[12:13], v174, 24, v[48:49]
	v_lshl_add_u64 v[52:53], v[50:51], 0, v[106:107]
	v_mad_u64_u32 v[48:49], s[12:13], v172, 24, v[48:49]
	v_lshl_add_u64 v[54:55], v[48:49], 0, v[108:109]
	global_load_dword v52, v[52:53], off offset:8
	s_nop 0
	global_load_dword v53, v[54:55], off offset:8
	s_nop 0
	global_load_dwordx2 v[48:49], v[48:49], off
	s_nop 0
	global_load_dwordx2 v[50:51], v[50:51], off
	v_pk_fma_f16 v46, v93, v34, v46
	v_pk_fma_f16 v42, v93, v38, v42
	;; [unrolled: 1-line block ×4, first 2 shown]
	v_mul_u32_u24_sdwa v34, v35, s56 dst_sel:DWORD dst_unused:UNUSED_PAD src0_sel:WORD_0 src1_sel:DWORD
	v_mul_u32_u24_sdwa v38, v39, s56 dst_sel:DWORD dst_unused:UNUSED_PAD src0_sel:WORD_0 src1_sel:DWORD
	ds_write_b128 v195, v[44:47]
	ds_write_b128 v195, v[40:43] offset:16
	v_mul_u32_u24_sdwa v35, v35, s56 dst_sel:DWORD dst_unused:UNUSED_PAD src0_sel:WORD_1 src1_sel:DWORD
	v_mul_u32_u24_sdwa v39, v39, s56 dst_sel:DWORD dst_unused:UNUSED_PAD src0_sel:WORD_1 src1_sel:DWORD
	s_waitcnt vmcnt(7)
	v_ashrrev_i32_e32 v54, v205, v183
	v_and_b32_e32 v54, 0xf0f0f0f, v54
	s_add_u32 s42, s42, s23
	s_waitcnt vmcnt(4)
	v_lshrrev_b32_e32 v55, v204, v37
	v_lshlrev_b32_e32 v55, 4, v55
	v_and_or_b32 v54, v55, 16, v54
	v_lshrrev_b32_e32 v55, v206, v37
	v_lshrrev_b32_e32 v93, v207, v37
	;; [unrolled: 1-line block ×3, first 2 shown]
	v_lshlrev_b32_e32 v55, 12, v55
	v_lshlrev_b32_e32 v93, 20, v93
	;; [unrolled: 1-line block ×3, first 2 shown]
	v_and_or_b32 v55, v55, s38, v54
	v_and_b32_e32 v93, 0x100000, v93
	v_and_b32_e32 v37, 0x10000000, v37
	v_or3_b32 v37, v93, v37, v55
	v_lshrrev_b32_e32 v55, 8, v55
	v_and_b32_e32 v54, 31, v54
	v_and_b32_e32 v55, 31, v55
	v_cvt_f16_u16_e32 v54, v54
	v_cvt_f16_u16_e32 v55, v55
	v_pack_b32_f16 v54, v54, v55
	v_and_b32_sdwa v55, v37, v211 dst_sel:DWORD dst_unused:UNUSED_PAD src0_sel:WORD_1 src1_sel:DWORD
	v_cvt_f16_u16_sdwa v37, v37 dst_sel:DWORD dst_unused:UNUSED_PAD src0_sel:BYTE_3
	v_cvt_f16_u16_e32 v55, v55
	v_mul_u32_u24_sdwa v93, v36, s56 dst_sel:DWORD dst_unused:UNUSED_PAD src0_sel:WORD_0 src1_sel:DWORD
	v_mul_u32_u24_sdwa v36, v36, s56 dst_sel:DWORD dst_unused:UNUSED_PAD src0_sel:WORD_1 src1_sel:DWORD
	v_pack_b32_f16 v37, v55, v37
	v_pk_fma_f16 v54, v54, v93, v36
	v_pk_fma_f16 v36, v37, v93, v36
	v_lshrrev_b32_e32 v37, v204, v33
	v_pk_fma_f16 v45, v36, v34, v45
	v_pk_fma_f16 v41, v36, v38, v41
	v_ashrrev_i32_e32 v36, v205, v184
	v_and_b32_e32 v36, 0xf0f0f0f, v36
	v_lshlrev_b32_e32 v37, 4, v37
	v_pk_fma_f16 v44, v54, v34, v44
	v_pk_fma_f16 v40, v54, v38, v40
	v_and_or_b32 v36, v37, 16, v36
	v_lshrrev_b32_e32 v37, v206, v33
	v_lshrrev_b32_e32 v54, v207, v33
	;; [unrolled: 1-line block ×3, first 2 shown]
	v_lshlrev_b32_e32 v37, 12, v37
	v_lshlrev_b32_e32 v54, 20, v54
	v_lshlrev_b32_e32 v33, 28, v33
	v_and_or_b32 v37, v37, s38, v36
	v_and_b32_e32 v54, 0x100000, v54
	v_and_b32_e32 v33, 0x10000000, v33
	v_or3_b32 v33, v54, v33, v37
	v_lshrrev_b32_e32 v37, 8, v37
	v_and_b32_e32 v36, 31, v36
	v_and_b32_e32 v37, 31, v37
	v_cvt_f16_u16_e32 v36, v36
	v_cvt_f16_u16_e32 v37, v37
	v_pack_b32_f16 v36, v36, v37
	v_and_b32_sdwa v37, v33, v211 dst_sel:DWORD dst_unused:UNUSED_PAD src0_sel:WORD_1 src1_sel:DWORD
	v_cvt_f16_u16_sdwa v33, v33 dst_sel:DWORD dst_unused:UNUSED_PAD src0_sel:BYTE_3
	v_cvt_f16_u16_e32 v37, v37
	v_mul_u32_u24_sdwa v54, v32, s56 dst_sel:DWORD dst_unused:UNUSED_PAD src0_sel:WORD_0 src1_sel:DWORD
	v_mul_u32_u24_sdwa v32, v32, s56 dst_sel:DWORD dst_unused:UNUSED_PAD src0_sel:WORD_1 src1_sel:DWORD
	v_pack_b32_f16 v33, v37, v33
	v_pk_fma_f16 v36, v36, v54, v32
	v_pk_fma_f16 v32, v33, v54, v32
	;; [unrolled: 1-line block ×5, first 2 shown]
	s_waitcnt vmcnt(3)
	v_ashrrev_i32_e32 v32, v205, v52
	v_and_b32_e32 v32, 0xf0f0f0f, v32
	v_pk_fma_f16 v42, v36, v38, v42
	s_waitcnt vmcnt(0)
	v_lshrrev_b32_e32 v33, v204, v51
	v_lshlrev_b32_e32 v33, 4, v33
	v_and_or_b32 v32, v33, 16, v32
	v_lshrrev_b32_e32 v33, v206, v51
	v_lshrrev_b32_e32 v34, v207, v51
	;; [unrolled: 1-line block ×3, first 2 shown]
	v_lshlrev_b32_e32 v33, 12, v33
	v_lshlrev_b32_e32 v34, 20, v34
	;; [unrolled: 1-line block ×3, first 2 shown]
	v_and_or_b32 v33, v33, s38, v32
	v_and_b32_e32 v34, 0x100000, v34
	v_and_b32_e32 v36, 0x10000000, v36
	v_or3_b32 v34, v34, v36, v33
	v_lshrrev_b32_e32 v33, 8, v33
	v_and_b32_e32 v32, 31, v32
	v_and_b32_e32 v33, 31, v33
	v_cvt_f16_u16_e32 v32, v32
	v_cvt_f16_u16_e32 v33, v33
	v_mul_u32_u24_sdwa v36, v50, s56 dst_sel:DWORD dst_unused:UNUSED_PAD src0_sel:WORD_0 src1_sel:DWORD
	v_mul_u32_u24_sdwa v37, v50, s56 dst_sel:DWORD dst_unused:UNUSED_PAD src0_sel:WORD_1 src1_sel:DWORD
	v_pack_b32_f16 v32, v32, v33
	v_pk_fma_f16 v33, v32, v36, v37
	v_and_b32_sdwa v32, v34, v211 dst_sel:DWORD dst_unused:UNUSED_PAD src0_sel:WORD_1 src1_sel:DWORD
	v_cvt_f16_u16_sdwa v34, v34 dst_sel:DWORD dst_unused:UNUSED_PAD src0_sel:BYTE_3
	v_cvt_f16_u16_e32 v32, v32
	v_pack_b32_f16 v32, v32, v34
	v_pk_fma_f16 v34, v32, v36, v37
	v_pk_fma_f16 v32, v33, v35, v44
	;; [unrolled: 1-line block ×5, first 2 shown]
	v_ashrrev_i32_e32 v34, v205, v53
	v_lshrrev_b32_e32 v38, v204, v49
	v_and_b32_e32 v34, 0xf0f0f0f, v34
	v_lshlrev_b32_e32 v38, 4, v38
	ds_write_b128 v195, v[40:43] offset:16
	v_and_or_b32 v34, v38, 16, v34
	v_lshrrev_b32_e32 v38, v206, v49
	v_lshrrev_b32_e32 v40, v207, v49
	;; [unrolled: 1-line block ×3, first 2 shown]
	v_lshlrev_b32_e32 v38, 12, v38
	v_lshlrev_b32_e32 v40, 20, v40
	;; [unrolled: 1-line block ×3, first 2 shown]
	v_and_or_b32 v38, v38, s38, v34
	v_and_b32_e32 v40, 0x100000, v40
	v_and_b32_e32 v41, 0x10000000, v41
	v_or3_b32 v40, v40, v41, v38
	v_lshrrev_b32_e32 v38, 8, v38
	v_and_b32_e32 v34, 31, v34
	v_and_b32_e32 v38, 31, v38
	v_cvt_f16_u16_e32 v34, v34
	v_cvt_f16_u16_e32 v38, v38
	ds_write_b128 v195, v[44:47]
	v_mul_u32_u24_sdwa v41, v48, s56 dst_sel:DWORD dst_unused:UNUSED_PAD src0_sel:WORD_0 src1_sel:DWORD
	v_mul_u32_u24_sdwa v44, v48, s56 dst_sel:DWORD dst_unused:UNUSED_PAD src0_sel:WORD_1 src1_sel:DWORD
	v_pack_b32_f16 v34, v34, v38
	v_pk_fma_f16 v38, v34, v41, v44
	v_and_b32_sdwa v34, v40, v211 dst_sel:DWORD dst_unused:UNUSED_PAD src0_sel:WORD_1 src1_sel:DWORD
	v_cvt_f16_u16_sdwa v40, v40 dst_sel:DWORD dst_unused:UNUSED_PAD src0_sel:BYTE_3
	v_cvt_f16_u16_e32 v34, v34
	s_addc_u32 s43, s43, 0
	s_lshl_b64 s[12:13], s[40:41], 1
	v_pack_b32_f16 v34, v34, v40
	s_add_u32 s28, s28, s12
	v_pk_fma_f16 v40, v34, v41, v44
	s_addc_u32 s29, s29, s13
	v_pk_fma_f16 v34, v38, v35, v46
	v_pk_fma_f16 v38, v38, v39, v42
	;; [unrolled: 1-line block ×4, first 2 shown]
	s_cmp_ge_i32 s22, s37
	ds_write_b128 v195, v[32:35]
	ds_write_b128 v195, v[36:39] offset:16
	s_cbranch_scc1 .LBB31_72
; %bb.70:                               ;   in Loop: Header=BB31_21 Depth=1
	v_mov_b32_e32 v37, v180
	v_mov_b32_e32 v36, v181
	s_branch .LBB31_21
.LBB31_71:
	v_mov_b32_e32 v180, 0xfeffffff
	v_mov_b32_e32 v56, 0
	;; [unrolled: 1-line block ×4, first 2 shown]
.LBB31_72:
	s_cmp_eq_u64 s[20:21], 0
	s_cselect_b64 s[6:7], -1, 0
	s_cmp_lg_u32 s5, 0
	s_cselect_b64 s[8:9], -1, 0
	s_or_b64 s[6:7], s[8:9], s[6:7]
	s_nor_b64 s[0:1], s[6:7], s[0:1]
	s_and_saveexec_b64 s[8:9], s[0:1]
	s_cbranch_execz .LBB31_74
; %bb.73:
	s_ashr_i32 s37, s36, 31
	s_lshl_b64 s[0:1], s[36:37], 2
	s_add_u32 s0, s20, s0
	s_addc_u32 s1, s21, s1
	s_load_dword s4, s[0:1], 0x0
	v_cmp_eq_u32_e32 vcc, 1, v175
	s_mov_b32 s10, 0x3fb8aa3b
	v_cmp_eq_u32_e64 s[0:1], 0, v175
	v_cndmask_b32_e32 v0, v180, v181, vcc
	v_max_f32_e32 v1, v0, v0
	s_waitcnt lgkmcnt(0)
	v_max_f32_e64 v2, s4, s4
	v_max_f32_e32 v1, v2, v1
	v_sub_f32_e32 v0, v0, v1
	v_mul_f32_e32 v2, 0x3fb8aa3b, v0
	v_fma_f32 v3, v0, s10, -v2
	v_rndne_f32_e32 v5, v2
	v_fmac_f32_e32 v3, 0x32a5705f, v0
	v_sub_f32_e32 v2, v2, v5
	v_add_f32_e32 v2, v2, v3
	v_exp_f32_e32 v2, v2
	v_cvt_i32_f32_e32 v3, v5
	v_cndmask_b32_e32 v181, v181, v1, vcc
	v_cndmask_b32_e64 v180, v180, v1, s[0:1]
	v_sub_f32_e32 v1, s4, v1
	v_ldexp_f32 v2, v2, v3
	v_mul_f32_e32 v3, 0x3fb8aa3b, v1
	v_fma_f32 v6, v1, s10, -v3
	v_rndne_f32_e32 v7, v3
	v_fmac_f32_e32 v6, 0x32a5705f, v1
	v_sub_f32_e32 v3, v3, v7
	v_add_f32_e32 v3, v3, v6
	v_exp_f32_e32 v3, v3
	v_cvt_i32_f32_e32 v6, v7
	s_mov_b32 s11, 0xc2ce8ed0
	v_cmp_ngt_f32_e64 s[6:7], s11, v0
	s_mov_b32 s12, 0x42b17218
	v_mov_b32_e32 v7, 0x7f800000
	v_cndmask_b32_e64 v2, 0, v2, s[6:7]
	v_cmp_nlt_f32_e64 s[6:7], s12, v0
	v_ldexp_f32 v0, v3, v6
	v_lshl_add_u32 v4, v175, 4, v195
	v_cndmask_b32_e64 v8, v7, v2, s[6:7]
	v_cmp_ngt_f32_e64 s[6:7], s11, v1
	v_cndmask_b32_e32 v5, v56, v57, vcc
	s_nop 0
	v_cndmask_b32_e64 v0, 0, v0, s[6:7]
	v_cmp_nlt_f32_e64 s[6:7], s12, v1
	s_nop 1
	v_cndmask_b32_e64 v0, v7, v0, s[6:7]
	v_cmp_eq_u32_e64 s[6:7], 0, v173
	v_cvt_f16_f32_e32 v7, v8
	s_nop 0
	v_cndmask_b32_e64 v6, 0, v0, s[6:7]
	ds_read_b128 v[0:3], v4
	v_fmac_f32_e32 v6, v5, v8
	v_mul_u32_u24_e32 v5, 0x10001, v7
	v_cndmask_b32_e32 v57, v57, v6, vcc
	v_cndmask_b32_e64 v56, v56, v6, s[0:1]
	s_waitcnt lgkmcnt(0)
	v_pk_mul_f16 v0, v0, v5
	v_pk_mul_f16 v1, v1, v5
	;; [unrolled: 1-line block ×4, first 2 shown]
	ds_write_b128 v4, v[0:3]
.LBB31_74:
	s_or_b64 exec, exec, s[8:9]
	v_cmp_eq_u32_e32 vcc, 0, v175
	v_add_u32_e32 v2, 0x900, v192
	v_add_u32_e32 v8, 0x800, v192
	s_and_saveexec_b64 s[0:1], vcc
	s_cbranch_execz .LBB31_76
; %bb.75:
	v_mov_b32_e32 v0, 0xfeffffff
	v_mov_b32_e32 v1, 0
	ds_write2_b32 v8, v0, v0 offset1:32
	ds_write2_b32 v2, v1, v1 offset1:32
.LBB31_76:
	s_or_b64 exec, exec, s[0:1]
	v_cmp_eq_u32_e64 s[0:1], 0, v173
	s_waitcnt lgkmcnt(0)
	s_barrier
	s_and_saveexec_b64 s[6:7], s[0:1]
; %bb.77:
	v_lshlrev_b32_e32 v0, 2, v175
	v_add_u32_e32 v0, 0x800, v0
	ds_write2_b32 v0, v180, v181 offset1:32
; %bb.78:
	s_or_b64 exec, exec, s[6:7]
	s_cmp_lt_i32 s33, s34
	s_waitcnt lgkmcnt(0)
	s_barrier
	s_cbranch_scc1 .LBB31_80
; %bb.79:
	s_load_dword s8, s[2:3], 0xd4
	s_mul_i32 s4, s50, s34
	s_cbranch_execz .LBB31_81
	s_branch .LBB31_88
.LBB31_80:
                                        ; implicit-def: $sgpr8
	s_mul_i32 s4, s50, s34
.LBB31_81:
	v_mbcnt_hi_u32_b32 v0, -1, v196
	v_and_b32_e32 v1, 0x60, v0
	ds_read_b32 v5, v8
	v_add_u32_e32 v1, 32, v1
	v_xor_b32_e32 v3, 16, v0
	v_cmp_lt_i32_e32 vcc, v3, v1
	v_xor_b32_e32 v4, 8, v0
	s_mov_b32 s6, 0x3fb8aa3b
	v_cndmask_b32_e32 v3, v0, v3, vcc
	v_lshlrev_b32_e32 v3, 2, v3
	s_waitcnt lgkmcnt(0)
	ds_bpermute_b32 v6, v3, v5
	v_cmp_lt_i32_e32 vcc, v4, v1
	v_max_f32_e32 v5, v5, v5
	ds_read_b128 v[12:15], v195
	v_cndmask_b32_e32 v4, v0, v4, vcc
	s_waitcnt lgkmcnt(1)
	v_max_f32_e32 v6, v6, v6
	v_lshlrev_b32_e32 v4, 2, v4
	v_max_f32_e32 v5, v5, v6
	ds_bpermute_b32 v7, v4, v5
	v_xor_b32_e32 v6, 4, v0
	v_cmp_lt_i32_e32 vcc, v6, v1
	s_load_dword s8, s[2:3], 0xd4
	s_waitcnt lgkmcnt(0)
	v_max_f32_e32 v7, v7, v7
	v_cndmask_b32_e32 v6, v0, v6, vcc
	v_lshlrev_b32_e32 v6, 2, v6
	v_max_f32_e32 v7, v5, v7
	ds_bpermute_b32 v9, v6, v7
	v_xor_b32_e32 v5, 2, v0
	v_cmp_lt_i32_e32 vcc, v5, v1
	s_waitcnt lgkmcnt(0)
	v_max_f32_e32 v9, v9, v9
	v_cndmask_b32_e32 v5, v0, v5, vcc
	v_lshlrev_b32_e32 v5, 2, v5
	v_max_f32_e32 v9, v7, v9
	ds_bpermute_b32 v10, v5, v9
	v_xor_b32_e32 v7, 1, v0
	v_cmp_lt_i32_e32 vcc, v7, v1
	s_nop 1
	v_cndmask_b32_e32 v0, v0, v7, vcc
	v_lshlrev_b32_e32 v7, 2, v0
	s_waitcnt lgkmcnt(0)
	v_max_f32_e32 v0, v10, v10
	v_max_f32_e32 v0, v9, v0
	ds_bpermute_b32 v1, v7, v0
	s_waitcnt lgkmcnt(0)
	v_max_f32_e32 v1, v1, v1
	v_max_f32_e32 v0, v0, v1
	v_sub_f32_e32 v1, v180, v0
	v_mul_f32_e32 v9, 0x3fb8aa3b, v1
	v_fma_f32 v10, v1, s6, -v9
	v_rndne_f32_e32 v11, v9
	v_fmamk_f32 v10, v1, 0x32a5705f, v10
	v_sub_f32_e32 v9, v9, v11
	v_add_f32_e32 v9, v9, v10
	v_exp_f32_e32 v9, v9
	v_cvt_i32_f32_e32 v10, v11
	s_mov_b32 s6, 0xc2ce8ed0
	v_cmp_ngt_f32_e32 vcc, s6, v1
	s_mov_b32 s6, 0x42b17218
	v_ldexp_f32 v9, v9, v10
	v_cndmask_b32_e32 v9, 0, v9, vcc
	v_mov_b32_e32 v10, 0x7f800000
	v_cmp_nlt_f32_e32 vcc, s6, v1
	s_nop 1
	v_cndmask_b32_e32 v1, v10, v9, vcc
	v_mul_f32_e32 v9, v56, v1
	ds_bpermute_b32 v10, v3, v9
	v_mov_b32_e32 v9, 0x900
	v_lshl_add_u32 v9, v175, 2, v9
	s_waitcnt lgkmcnt(0)
	v_fmac_f32_e32 v10, v56, v1
	ds_bpermute_b32 v11, v4, v10
	v_cvt_f16_f32_e32 v1, v1
	s_waitcnt lgkmcnt(0)
	v_add_f32_e32 v11, v10, v11
	ds_bpermute_b32 v16, v6, v11
	v_mul_u32_u24_e32 v17, 0x10001, v1
	v_lshlrev_b32_e32 v10, 3, v173
	v_add_u32_e32 v10, v190, v10
	v_pk_mul_f16 v12, v12, v17
	s_waitcnt lgkmcnt(0)
	v_add_f32_e32 v11, v11, v16
	ds_bpermute_b32 v16, v5, v11
	v_pk_mul_f16 v13, v13, v17
	v_pk_mul_f16 v14, v14, v17
	;; [unrolled: 1-line block ×3, first 2 shown]
	ds_write_b128 v195, v[12:15]
	ds_write2_b64 v10, v[12:13], v[14:15] offset1:32
	s_waitcnt lgkmcnt(2)
	v_add_f32_e32 v1, v11, v16
	ds_bpermute_b32 v11, v7, v1
	s_and_saveexec_b64 s[2:3], s[0:1]
	s_cbranch_execz .LBB31_83
; %bb.82:
	s_waitcnt lgkmcnt(0)
	v_add_f32_e32 v1, v1, v11
	ds_write_b32 v9, v1
.LBB31_83:
	s_or_b64 exec, exec, s[2:3]
	s_waitcnt lgkmcnt(0)
	s_barrier
	ds_read_b32 v1, v2
	ds_read_u16 v11, v193
	ds_read_u16 v13, v193 offset:1280
	ds_read_u16 v14, v193 offset:768
	ds_read_u16 v15, v193 offset:256
	s_waitcnt lgkmcnt(4)
	ds_bpermute_b32 v12, v3, v1
	ds_read_u16 v17, v193 offset:512
	ds_read_u16 v18, v193 offset:1024
	;; [unrolled: 1-line block ×3, first 2 shown]
	s_waitcnt lgkmcnt(7)
	v_cvt_f32_f16_e32 v11, v11
	s_cmp_eq_u32 s8, 1
	s_waitcnt lgkmcnt(2)
	v_cvt_f32_f16_e32 v17, v17
	v_add_f32_e32 v1, v1, v12
	ds_bpermute_b32 v12, v4, v1
	s_waitcnt lgkmcnt(2)
	v_cvt_f32_f16_e32 v18, v18
	s_waitcnt lgkmcnt(1)
	v_cvt_f32_f16_e32 v19, v19
	v_add_f32_e32 v11, 0, v11
	v_add_f32_e32 v11, v11, v17
	s_waitcnt lgkmcnt(0)
	v_add_f32_e32 v12, v1, v12
	ds_bpermute_b32 v16, v6, v12
	v_add_f32_e32 v11, v11, v18
	v_add_f32_e32 v11, v11, v19
	ds_read_u16 v17, v193 offset:1792
	v_cvt_f32_f16_e32 v15, v15
	s_waitcnt lgkmcnt(1)
	v_add_f32_e32 v12, v12, v16
	ds_bpermute_b32 v16, v5, v12
	v_cvt_f32_f16_e32 v14, v14
	v_cvt_f32_f16_e32 v13, v13
	v_add_f32_e32 v15, 0, v15
	v_mov_b32_e32 v1, v181
	s_waitcnt lgkmcnt(0)
	v_add_f32_e32 v12, v12, v16
	ds_bpermute_b32 v16, v7, v12
	v_add_f32_e32 v14, v15, v14
	v_add_f32_e32 v13, v14, v13
	s_waitcnt lgkmcnt(0)
	v_add_f32_e32 v56, v12, v16
	v_div_scale_f32 v12, s[2:3], v56, v56, v11
	v_rcp_f32_e32 v16, v12
	v_div_scale_f32 v18, vcc, v11, v56, v11
	s_cselect_b64 s[2:3], -1, 0
	v_fma_f32 v19, -v12, v16, 1.0
	v_fmac_f32_e32 v16, v19, v16
	v_mul_f32_e32 v19, v18, v16
	v_fma_f32 v20, -v12, v19, v18
	v_fmac_f32_e32 v19, v20, v16
	v_fma_f32 v12, -v12, v19, v18
	v_div_fmas_f32 v12, v12, v16, v19
	v_div_fixup_f32 v16, v12, v56, v11
	s_add_i32 s6, s4, s33
	v_cndmask_b32_e64 v11, v11, v16, s[2:3]
	v_cvt_f32_f16_e32 v16, v17
	s_mul_i32 s9, s6, s35
	s_add_i32 s9, s9, s36
	s_mul_i32 s6, s8, s9
	s_add_i32 s6, s6, s5
	v_add_f32_e32 v14, v13, v16
	v_lshl_or_b32 v12, s6, 8, v191
	v_div_scale_f32 v15, s[6:7], v56, v56, v14
	v_rcp_f32_e32 v16, v15
	v_mov_b32_e32 v13, 0
	v_lshl_add_u64 v[12:13], v[12:13], 2, s[24:25]
	global_store_dword v[12:13], v11, off
	v_fma_f32 v11, -v15, v16, 1.0
	v_fmac_f32_e32 v16, v11, v16
	v_div_scale_f32 v11, vcc, v14, v56, v14
	v_mul_f32_e32 v17, v11, v16
	v_fma_f32 v18, -v15, v17, v11
	v_fmac_f32_e32 v17, v18, v16
	v_fma_f32 v11, -v15, v17, v11
	v_div_fmas_f32 v11, v11, v16, v17
	v_div_fixup_f32 v11, v11, v56, v14
	s_or_b32 s6, s33, 1
	v_cndmask_b32_e64 v11, v14, v11, s[2:3]
	s_cmp_ge_i32 s6, s34
	global_store_dword v[12:13], v11, off offset:512
	s_barrier
	s_cbranch_scc1 .LBB31_87
; %bb.84:
	ds_read_b32 v1, v8 offset:128
	s_mov_b32 s6, 0x3fb8aa3b
	s_mov_b32 s7, 0x42b17218
	s_waitcnt lgkmcnt(0)
	ds_bpermute_b32 v8, v3, v1
	v_max_f32_e32 v1, v1, v1
	s_waitcnt lgkmcnt(0)
	v_max_f32_e32 v8, v8, v8
	v_max_f32_e32 v1, v1, v8
	ds_bpermute_b32 v8, v4, v1
	s_waitcnt lgkmcnt(0)
	v_max_f32_e32 v8, v8, v8
	v_max_f32_e32 v1, v1, v8
	ds_bpermute_b32 v8, v6, v1
	;; [unrolled: 4-line block ×4, first 2 shown]
	s_waitcnt lgkmcnt(0)
	v_max_f32_e32 v8, v8, v8
	v_max_f32_e32 v1, v1, v8
	v_sub_f32_e32 v8, v181, v1
	v_mul_f32_e32 v11, 0x3fb8aa3b, v8
	v_fma_f32 v12, v8, s6, -v11
	v_rndne_f32_e32 v13, v11
	v_fmamk_f32 v12, v8, 0x32a5705f, v12
	v_sub_f32_e32 v11, v11, v13
	v_add_f32_e32 v11, v11, v12
	v_cvt_i32_f32_e32 v13, v13
	v_exp_f32_e32 v11, v11
	s_mov_b32 s6, 0xc2ce8ed0
	v_cmp_ngt_f32_e32 vcc, s6, v8
	v_mov_b32_e32 v12, 0x7f800000
	v_ldexp_f32 v11, v11, v13
	v_cndmask_b32_e32 v11, 0, v11, vcc
	v_cmp_nlt_f32_e32 vcc, s7, v8
	s_nop 1
	v_cndmask_b32_e32 v8, v12, v11, vcc
	v_mul_f32_e32 v11, v57, v8
	ds_bpermute_b32 v11, v3, v11
	s_waitcnt lgkmcnt(0)
	v_fmac_f32_e32 v11, v57, v8
	ds_bpermute_b32 v12, v4, v11
	v_cvt_f16_f32_e32 v8, v8
	s_waitcnt lgkmcnt(0)
	v_add_f32_e32 v11, v11, v12
	ds_bpermute_b32 v16, v6, v11
	ds_read_b128 v[12:15], v195 offset:16
	v_mul_u32_u24_e32 v17, 0x10001, v8
	s_waitcnt lgkmcnt(1)
	v_add_f32_e32 v11, v11, v16
	ds_bpermute_b32 v16, v5, v11
	s_waitcnt lgkmcnt(1)
	v_pk_mul_f16 v12, v12, v17
	v_pk_mul_f16 v13, v13, v17
	;; [unrolled: 1-line block ×4, first 2 shown]
	s_waitcnt lgkmcnt(0)
	v_add_f32_e32 v8, v11, v16
	ds_bpermute_b32 v11, v7, v8
	ds_write_b128 v195, v[12:15] offset:16
	ds_write2_b64 v10, v[12:13], v[14:15] offset1:32
	s_and_saveexec_b64 s[6:7], s[0:1]
	s_cbranch_execz .LBB31_86
; %bb.85:
	s_waitcnt lgkmcnt(2)
	v_add_f32_e32 v8, v8, v11
	ds_write_b32 v9, v8 offset:128
.LBB31_86:
	s_or_b64 exec, exec, s[6:7]
	s_waitcnt lgkmcnt(0)
	s_barrier
	ds_read_b32 v2, v2 offset:128
	ds_read_u16 v8, v193
	ds_read_u16 v9, v193 offset:1280
	ds_read_u16 v10, v193 offset:768
	;; [unrolled: 1-line block ×3, first 2 shown]
	s_waitcnt lgkmcnt(4)
	ds_bpermute_b32 v3, v3, v2
	s_add_i32 s9, s9, s35
	s_mul_i32 s0, s8, s9
	s_add_i32 s6, s0, s5
	s_waitcnt lgkmcnt(0)
	v_add_f32_e32 v2, v2, v3
	ds_bpermute_b32 v3, v4, v2
	ds_read_u16 v4, v193 offset:512
	ds_read_u16 v12, v193 offset:1024
	;; [unrolled: 1-line block ×3, first 2 shown]
	s_waitcnt lgkmcnt(2)
	v_cvt_f32_f16_e32 v4, v4
	v_add_f32_e32 v2, v2, v3
	ds_bpermute_b32 v3, v6, v2
	ds_read_u16 v6, v193 offset:1792
	s_waitcnt lgkmcnt(1)
	v_add_f32_e32 v2, v2, v3
	ds_bpermute_b32 v3, v5, v2
	v_cvt_f32_f16_e32 v5, v8
	v_cvt_f32_f16_e32 v8, v12
	;; [unrolled: 1-line block ×3, first 2 shown]
	s_waitcnt lgkmcnt(1)
	v_cvt_f32_f16_e32 v6, v6
	s_waitcnt lgkmcnt(0)
	v_add_f32_e32 v2, v2, v3
	ds_bpermute_b32 v3, v7, v2
	v_add_f32_e32 v5, 0, v5
	v_add_f32_e32 v4, v5, v4
	;; [unrolled: 1-line block ×4, first 2 shown]
	s_waitcnt lgkmcnt(0)
	v_add_f32_e32 v57, v2, v3
	v_div_scale_f32 v3, s[0:1], v57, v57, v4
	v_rcp_f32_e32 v5, v3
	v_div_scale_f32 v7, vcc, v4, v57, v4
	v_lshl_or_b32 v2, s6, 8, v191
	v_fma_f32 v8, -v3, v5, 1.0
	v_fmac_f32_e32 v5, v8, v5
	v_mul_f32_e32 v8, v7, v5
	v_fma_f32 v12, -v3, v8, v7
	v_fmac_f32_e32 v8, v12, v5
	v_fma_f32 v3, -v3, v8, v7
	v_div_fmas_f32 v3, v3, v5, v8
	v_div_fixup_f32 v3, v3, v57, v4
	v_cndmask_b32_e64 v4, v4, v3, s[2:3]
	v_cvt_f32_f16_e32 v3, v11
	v_cvt_f32_f16_e32 v5, v10
	;; [unrolled: 1-line block ×3, first 2 shown]
	v_add_f32_e32 v3, 0, v3
	v_add_f32_e32 v3, v3, v5
	;; [unrolled: 1-line block ×4, first 2 shown]
	v_div_scale_f32 v6, s[0:1], v57, v57, v5
	v_rcp_f32_e32 v7, v6
	v_mov_b32_e32 v3, 0
	v_lshl_add_u64 v[2:3], v[2:3], 2, s[24:25]
	global_store_dword v[2:3], v4, off
	v_fma_f32 v4, -v6, v7, 1.0
	v_fmac_f32_e32 v7, v4, v7
	v_div_scale_f32 v4, vcc, v5, v57, v5
	v_mul_f32_e32 v8, v4, v7
	v_fma_f32 v9, -v6, v8, v4
	v_fmac_f32_e32 v8, v9, v7
	v_fma_f32 v4, -v6, v8, v4
	v_div_fmas_f32 v4, v4, v7, v8
	v_div_fixup_f32 v4, v4, v57, v5
	v_cndmask_b32_e64 v4, v5, v4, s[2:3]
	global_store_dword v[2:3], v4, off offset:512
.LBB31_87:
	v_mov_b64_e32 v[180:181], v[0:1]
.LBB31_88:
	s_waitcnt lgkmcnt(0)
	s_cmp_lg_u32 s8, 1
	s_cselect_b64 s[0:1], -1, 0
	v_cmp_gt_u32_e32 vcc, 2, v191
	v_or_b32_e32 v0, s33, v173
	s_and_b64 s[0:1], s[0:1], vcc
	v_cmp_gt_i32_e32 vcc, s34, v0
	s_and_b64 s[0:1], s[0:1], vcc
	s_and_saveexec_b64 s[2:3], s[0:1]
	s_cbranch_execz .LBB31_90
; %bb.89:
	v_add_u32_e32 v0, s4, v0
	v_mul_lo_u32 v0, v0, s35
	v_add_u32_e32 v0, s36, v0
	v_mul_lo_u32 v0, s8, v0
	v_mov_b32_e32 v2, s26
	v_mov_b32_e32 v3, s27
	v_cmp_eq_u32_e32 vcc, 1, v191
	v_add_u32_e32 v0, s5, v0
	v_mov_b32_e32 v1, 0
	v_cndmask_b32_e32 v4, v180, v181, vcc
	v_cndmask_b32_e32 v5, v56, v57, vcc
	v_lshl_add_u64 v[0:1], v[0:1], 3, v[2:3]
	global_store_dwordx2 v[0:1], v[4:5], off
.LBB31_90:
	s_endpgm
	.section	.rodata,"a",@progbits
	.p2align	6, 0x0
	.amdhsa_kernel _ZL18flash_attn_ext_vecILi256ELi2EL9ggml_type7ELS0_7ELb1EEvPKcS2_S2_S2_S2_PKiPfP15HIP_vector_typeIfLj2EEffffjfiS6_IjLj3EEiiiiiiiiiiiliiliiiiil
		.amdhsa_group_segment_fixed_size 6656
		.amdhsa_private_segment_fixed_size 0
		.amdhsa_kernarg_size 464
		.amdhsa_user_sgpr_count 4
		.amdhsa_user_sgpr_dispatch_ptr 1
		.amdhsa_user_sgpr_queue_ptr 0
		.amdhsa_user_sgpr_kernarg_segment_ptr 1
		.amdhsa_user_sgpr_dispatch_id 0
		.amdhsa_user_sgpr_kernarg_preload_length 0
		.amdhsa_user_sgpr_kernarg_preload_offset 0
		.amdhsa_user_sgpr_private_segment_size 0
		.amdhsa_uses_dynamic_stack 0
		.amdhsa_enable_private_segment 0
		.amdhsa_system_sgpr_workgroup_id_x 1
		.amdhsa_system_sgpr_workgroup_id_y 1
		.amdhsa_system_sgpr_workgroup_id_z 1
		.amdhsa_system_sgpr_workgroup_info 0
		.amdhsa_system_vgpr_workitem_id 2
		.amdhsa_next_free_vgpr 235
		.amdhsa_next_free_sgpr 57
		.amdhsa_accum_offset 236
		.amdhsa_reserve_vcc 1
		.amdhsa_float_round_mode_32 0
		.amdhsa_float_round_mode_16_64 0
		.amdhsa_float_denorm_mode_32 3
		.amdhsa_float_denorm_mode_16_64 3
		.amdhsa_dx10_clamp 1
		.amdhsa_ieee_mode 1
		.amdhsa_fp16_overflow 0
		.amdhsa_tg_split 0
		.amdhsa_exception_fp_ieee_invalid_op 0
		.amdhsa_exception_fp_denorm_src 0
		.amdhsa_exception_fp_ieee_div_zero 0
		.amdhsa_exception_fp_ieee_overflow 0
		.amdhsa_exception_fp_ieee_underflow 0
		.amdhsa_exception_fp_ieee_inexact 0
		.amdhsa_exception_int_div_zero 0
	.end_amdhsa_kernel
	.section	.text._ZL18flash_attn_ext_vecILi256ELi2EL9ggml_type7ELS0_7ELb1EEvPKcS2_S2_S2_S2_PKiPfP15HIP_vector_typeIfLj2EEffffjfiS6_IjLj3EEiiiiiiiiiiiliiliiiiil,"axG",@progbits,_ZL18flash_attn_ext_vecILi256ELi2EL9ggml_type7ELS0_7ELb1EEvPKcS2_S2_S2_S2_PKiPfP15HIP_vector_typeIfLj2EEffffjfiS6_IjLj3EEiiiiiiiiiiiliiliiiiil,comdat
.Lfunc_end31:
	.size	_ZL18flash_attn_ext_vecILi256ELi2EL9ggml_type7ELS0_7ELb1EEvPKcS2_S2_S2_S2_PKiPfP15HIP_vector_typeIfLj2EEffffjfiS6_IjLj3EEiiiiiiiiiiiliiliiiiil, .Lfunc_end31-_ZL18flash_attn_ext_vecILi256ELi2EL9ggml_type7ELS0_7ELb1EEvPKcS2_S2_S2_S2_PKiPfP15HIP_vector_typeIfLj2EEffffjfiS6_IjLj3EEiiiiiiiiiiiliiliiiiil
                                        ; -- End function
	.set _ZL18flash_attn_ext_vecILi256ELi2EL9ggml_type7ELS0_7ELb1EEvPKcS2_S2_S2_S2_PKiPfP15HIP_vector_typeIfLj2EEffffjfiS6_IjLj3EEiiiiiiiiiiiliiliiiiil.num_vgpr, 235
	.set _ZL18flash_attn_ext_vecILi256ELi2EL9ggml_type7ELS0_7ELb1EEvPKcS2_S2_S2_S2_PKiPfP15HIP_vector_typeIfLj2EEffffjfiS6_IjLj3EEiiiiiiiiiiiliiliiiiil.num_agpr, 0
	.set _ZL18flash_attn_ext_vecILi256ELi2EL9ggml_type7ELS0_7ELb1EEvPKcS2_S2_S2_S2_PKiPfP15HIP_vector_typeIfLj2EEffffjfiS6_IjLj3EEiiiiiiiiiiiliiliiiiil.numbered_sgpr, 57
	.set _ZL18flash_attn_ext_vecILi256ELi2EL9ggml_type7ELS0_7ELb1EEvPKcS2_S2_S2_S2_PKiPfP15HIP_vector_typeIfLj2EEffffjfiS6_IjLj3EEiiiiiiiiiiiliiliiiiil.num_named_barrier, 0
	.set _ZL18flash_attn_ext_vecILi256ELi2EL9ggml_type7ELS0_7ELb1EEvPKcS2_S2_S2_S2_PKiPfP15HIP_vector_typeIfLj2EEffffjfiS6_IjLj3EEiiiiiiiiiiiliiliiiiil.private_seg_size, 0
	.set _ZL18flash_attn_ext_vecILi256ELi2EL9ggml_type7ELS0_7ELb1EEvPKcS2_S2_S2_S2_PKiPfP15HIP_vector_typeIfLj2EEffffjfiS6_IjLj3EEiiiiiiiiiiiliiliiiiil.uses_vcc, 1
	.set _ZL18flash_attn_ext_vecILi256ELi2EL9ggml_type7ELS0_7ELb1EEvPKcS2_S2_S2_S2_PKiPfP15HIP_vector_typeIfLj2EEffffjfiS6_IjLj3EEiiiiiiiiiiiliiliiiiil.uses_flat_scratch, 0
	.set _ZL18flash_attn_ext_vecILi256ELi2EL9ggml_type7ELS0_7ELb1EEvPKcS2_S2_S2_S2_PKiPfP15HIP_vector_typeIfLj2EEffffjfiS6_IjLj3EEiiiiiiiiiiiliiliiiiil.has_dyn_sized_stack, 0
	.set _ZL18flash_attn_ext_vecILi256ELi2EL9ggml_type7ELS0_7ELb1EEvPKcS2_S2_S2_S2_PKiPfP15HIP_vector_typeIfLj2EEffffjfiS6_IjLj3EEiiiiiiiiiiiliiliiiiil.has_recursion, 0
	.set _ZL18flash_attn_ext_vecILi256ELi2EL9ggml_type7ELS0_7ELb1EEvPKcS2_S2_S2_S2_PKiPfP15HIP_vector_typeIfLj2EEffffjfiS6_IjLj3EEiiiiiiiiiiiliiliiiiil.has_indirect_call, 0
	.section	.AMDGPU.csdata,"",@progbits
; Kernel info:
; codeLenInByte = 36848
; TotalNumSgprs: 63
; NumVgprs: 235
; NumAgprs: 0
; TotalNumVgprs: 235
; ScratchSize: 0
; MemoryBound: 0
; FloatMode: 240
; IeeeMode: 1
; LDSByteSize: 6656 bytes/workgroup (compile time only)
; SGPRBlocks: 7
; VGPRBlocks: 29
; NumSGPRsForWavesPerEU: 63
; NumVGPRsForWavesPerEU: 235
; AccumOffset: 236
; Occupancy: 2
; WaveLimiterHint : 0
; COMPUTE_PGM_RSRC2:SCRATCH_EN: 0
; COMPUTE_PGM_RSRC2:USER_SGPR: 4
; COMPUTE_PGM_RSRC2:TRAP_HANDLER: 0
; COMPUTE_PGM_RSRC2:TGID_X_EN: 1
; COMPUTE_PGM_RSRC2:TGID_Y_EN: 1
; COMPUTE_PGM_RSRC2:TGID_Z_EN: 1
; COMPUTE_PGM_RSRC2:TIDIG_COMP_CNT: 2
; COMPUTE_PGM_RSRC3_GFX90A:ACCUM_OFFSET: 58
; COMPUTE_PGM_RSRC3_GFX90A:TG_SPLIT: 0
	.text
	.p2alignl 6, 3212836864
	.fill 256, 4, 3212836864
	.section	.AMDGPU.gpr_maximums,"",@progbits
	.set amdgpu.max_num_vgpr, 52
	.set amdgpu.max_num_agpr, 0
	.set amdgpu.max_num_sgpr, 34
	.text
	.type	.str.3,@object                  ; @.str.3
	.section	.rodata.str1.1,"aMS",@progbits,1
.str.3:
	.asciz	"/root/src/amdgpu-assembly/repos/ggml-org__llama.cpp/ggml/src/ggml-cuda/template-instances/../fattn-vec.cuh"
	.size	.str.3, 107

	.type	__FUNCTION__._ZL18flash_attn_ext_vecILi64ELi1EL9ggml_type7ELS0_7ELb1EEvPKcS2_S2_S2_S2_PKiPfP15HIP_vector_typeIfLj2EEffffjfiS6_IjLj3EEiiiiiiiiiiiliiliiiiil,@object ; @__FUNCTION__._ZL18flash_attn_ext_vecILi64ELi1EL9ggml_type7ELS0_7ELb1EEvPKcS2_S2_S2_S2_PKiPfP15HIP_vector_typeIfLj2EEffffjfiS6_IjLj3EEiiiiiiiiiiiliiliiiiil
__FUNCTION__._ZL18flash_attn_ext_vecILi64ELi1EL9ggml_type7ELS0_7ELb1EEvPKcS2_S2_S2_S2_PKiPfP15HIP_vector_typeIfLj2EEffffjfiS6_IjLj3EEiiiiiiiiiiiliiliiiiil:
	.asciz	"flash_attn_ext_vec"
	.size	__FUNCTION__._ZL18flash_attn_ext_vecILi64ELi1EL9ggml_type7ELS0_7ELb1EEvPKcS2_S2_S2_S2_PKiPfP15HIP_vector_typeIfLj2EEffffjfiS6_IjLj3EEiiiiiiiiiiiliiliiiiil, 19

	.type	.str.5,@object                  ; @.str.5
.str.5:
	.asciz	"%s:%d: ERROR: HIP kernel %s has no device code compatible with HIP arch %d.\n"
	.size	.str.5, 77

	.type	__hip_cuid_5b59cb9d645b29c8,@object ; @__hip_cuid_5b59cb9d645b29c8
	.section	.bss,"aw",@nobits
	.globl	__hip_cuid_5b59cb9d645b29c8
__hip_cuid_5b59cb9d645b29c8:
	.byte	0                               ; 0x0
	.size	__hip_cuid_5b59cb9d645b29c8, 1

	.ident	"AMD clang version 22.0.0git (https://github.com/RadeonOpenCompute/llvm-project roc-7.2.4 26084 f58b06dce1f9c15707c5f808fd002e18c2accf7e)"
	.section	".note.GNU-stack","",@progbits
	.addrsig
	.addrsig_sym __hip_cuid_5b59cb9d645b29c8
	.amdgpu_metadata
---
amdhsa.kernels:
  - .agpr_count:     0
    .args:
      - .address_space:  global
        .offset:         0
        .size:           8
        .value_kind:     global_buffer
      - .address_space:  global
        .offset:         8
        .size:           8
        .value_kind:     global_buffer
      - .address_space:  global
        .offset:         16
        .size:           8
        .value_kind:     global_buffer
      - .address_space:  global
        .offset:         24
        .size:           8
        .value_kind:     global_buffer
      - .address_space:  global
        .offset:         32
        .size:           8
        .value_kind:     global_buffer
      - .address_space:  global
        .offset:         40
        .size:           8
        .value_kind:     global_buffer
      - .address_space:  global
        .offset:         48
        .size:           8
        .value_kind:     global_buffer
      - .address_space:  global
        .offset:         56
        .size:           8
        .value_kind:     global_buffer
      - .offset:         64
        .size:           4
        .value_kind:     by_value
      - .offset:         68
        .size:           4
        .value_kind:     by_value
      - .offset:         72
        .size:           4
        .value_kind:     by_value
      - .offset:         76
        .size:           4
        .value_kind:     by_value
      - .offset:         80
        .size:           4
        .value_kind:     by_value
      - .offset:         84
        .size:           4
        .value_kind:     by_value
      - .offset:         88
        .size:           4
        .value_kind:     by_value
      - .offset:         92
        .size:           12
        .value_kind:     by_value
      - .offset:         104
        .size:           4
        .value_kind:     by_value
      - .offset:         108
        .size:           4
        .value_kind:     by_value
      - .offset:         112
        .size:           4
        .value_kind:     by_value
      - .offset:         116
        .size:           4
        .value_kind:     by_value
      - .offset:         120
        .size:           4
        .value_kind:     by_value
      - .offset:         124
        .size:           4
        .value_kind:     by_value
      - .offset:         128
        .size:           4
        .value_kind:     by_value
      - .offset:         132
        .size:           4
        .value_kind:     by_value
      - .offset:         136
        .size:           4
        .value_kind:     by_value
      - .offset:         140
        .size:           4
        .value_kind:     by_value
      - .offset:         144
        .size:           4
        .value_kind:     by_value
      - .offset:         152
        .size:           8
        .value_kind:     by_value
      - .offset:         160
        .size:           4
        .value_kind:     by_value
      - .offset:         164
        .size:           4
        .value_kind:     by_value
      - .offset:         168
        .size:           8
        .value_kind:     by_value
      - .offset:         176
        .size:           4
        .value_kind:     by_value
      - .offset:         180
        .size:           4
        .value_kind:     by_value
      - .offset:         184
        .size:           4
        .value_kind:     by_value
      - .offset:         188
        .size:           4
        .value_kind:     by_value
      - .offset:         192
        .size:           4
        .value_kind:     by_value
      - .offset:         200
        .size:           8
        .value_kind:     by_value
      - .offset:         208
        .size:           4
        .value_kind:     hidden_block_count_x
      - .offset:         212
        .size:           4
        .value_kind:     hidden_block_count_y
      - .offset:         216
        .size:           4
        .value_kind:     hidden_block_count_z
      - .offset:         220
        .size:           2
        .value_kind:     hidden_group_size_x
      - .offset:         222
        .size:           2
        .value_kind:     hidden_group_size_y
      - .offset:         224
        .size:           2
        .value_kind:     hidden_group_size_z
      - .offset:         226
        .size:           2
        .value_kind:     hidden_remainder_x
      - .offset:         228
        .size:           2
        .value_kind:     hidden_remainder_y
      - .offset:         230
        .size:           2
        .value_kind:     hidden_remainder_z
      - .offset:         248
        .size:           8
        .value_kind:     hidden_global_offset_x
      - .offset:         256
        .size:           8
        .value_kind:     hidden_global_offset_y
      - .offset:         264
        .size:           8
        .value_kind:     hidden_global_offset_z
      - .offset:         272
        .size:           2
        .value_kind:     hidden_grid_dims
    .group_segment_fixed_size: 1280
    .kernarg_segment_align: 8
    .kernarg_segment_size: 464
    .language:       OpenCL C
    .language_version:
      - 2
      - 0
    .max_flat_workgroup_size: 128
    .name:           _ZL18flash_attn_ext_vecILi64ELi1EL9ggml_type7ELS0_7ELb0EEvPKcS2_S2_S2_S2_PKiPfP15HIP_vector_typeIfLj2EEffffjfiS6_IjLj3EEiiiiiiiiiiiliiliiiiil
    .private_segment_fixed_size: 0
    .sgpr_count:     70
    .sgpr_spill_count: 0
    .symbol:         _ZL18flash_attn_ext_vecILi64ELi1EL9ggml_type7ELS0_7ELb0EEvPKcS2_S2_S2_S2_PKiPfP15HIP_vector_typeIfLj2EEffffjfiS6_IjLj3EEiiiiiiiiiiiliiliiiiil.kd
    .uniform_work_group_size: 1
    .uses_dynamic_stack: false
    .vgpr_count:     149
    .vgpr_spill_count: 0
    .wavefront_size: 64
  - .agpr_count:     0
    .args:
      - .actual_access:  read_only
        .address_space:  global
        .offset:         0
        .size:           8
        .value_kind:     global_buffer
      - .actual_access:  write_only
        .address_space:  global
        .offset:         8
        .size:           8
        .value_kind:     global_buffer
      - .offset:         16
        .size:           4
        .value_kind:     by_value
      - .offset:         20
        .size:           4
        .value_kind:     by_value
      - .offset:         24
        .size:           4
        .value_kind:     by_value
      - .offset:         32
        .size:           4
        .value_kind:     hidden_block_count_x
      - .offset:         36
        .size:           4
        .value_kind:     hidden_block_count_y
      - .offset:         40
        .size:           4
        .value_kind:     hidden_block_count_z
      - .offset:         44
        .size:           2
        .value_kind:     hidden_group_size_x
      - .offset:         46
        .size:           2
        .value_kind:     hidden_group_size_y
      - .offset:         48
        .size:           2
        .value_kind:     hidden_group_size_z
      - .offset:         50
        .size:           2
        .value_kind:     hidden_remainder_x
      - .offset:         52
        .size:           2
        .value_kind:     hidden_remainder_y
      - .offset:         54
        .size:           2
        .value_kind:     hidden_remainder_z
      - .offset:         72
        .size:           8
        .value_kind:     hidden_global_offset_x
      - .offset:         80
        .size:           8
        .value_kind:     hidden_global_offset_y
      - .offset:         88
        .size:           8
        .value_kind:     hidden_global_offset_z
      - .offset:         96
        .size:           2
        .value_kind:     hidden_grid_dims
    .group_segment_fixed_size: 128
    .kernarg_segment_align: 8
    .kernarg_segment_size: 288
    .language:       OpenCL C
    .language_version:
      - 2
      - 0
    .max_flat_workgroup_size: 128
    .name:           _ZL25flash_attn_mask_to_KV_maxILi1EEvPK7__half2Piiii
    .private_segment_fixed_size: 0
    .sgpr_count:     26
    .sgpr_spill_count: 0
    .symbol:         _ZL25flash_attn_mask_to_KV_maxILi1EEvPK7__half2Piiii.kd
    .uniform_work_group_size: 1
    .uses_dynamic_stack: false
    .vgpr_count:     17
    .vgpr_spill_count: 0
    .wavefront_size: 64
  - .agpr_count:     0
    .args:
      - .address_space:  global
        .offset:         0
        .size:           8
        .value_kind:     global_buffer
      - .address_space:  global
        .offset:         8
        .size:           8
        .value_kind:     global_buffer
      - .offset:         16
        .size:           4
        .value_kind:     by_value
      - .offset:         20
        .size:           4
        .value_kind:     by_value
      - .offset:         24
        .size:           4
        .value_kind:     by_value
      - .offset:         28
        .size:           4
        .value_kind:     by_value
      - .offset:         32
        .size:           4
        .value_kind:     by_value
      - .offset:         36
        .size:           4
        .value_kind:     by_value
      - .offset:         40
        .size:           12
        .value_kind:     by_value
      - .offset:         52
        .size:           12
        .value_kind:     by_value
      - .offset:         64
        .size:           12
        .value_kind:     by_value
    .group_segment_fixed_size: 0
    .kernarg_segment_align: 8
    .kernarg_segment_size: 76
    .language:       OpenCL C
    .language_version:
      - 2
      - 0
    .max_flat_workgroup_size: 64
    .name:           _ZL33flash_attn_stream_k_fixup_uniformILi64ELi1ELi1EEvPfPK15HIP_vector_typeIfLj2EEiiiiiiS1_IjLj3EES5_S5_
    .private_segment_fixed_size: 0
    .sgpr_count:     26
    .sgpr_spill_count: 0
    .symbol:         _ZL33flash_attn_stream_k_fixup_uniformILi64ELi1ELi1EEvPfPK15HIP_vector_typeIfLj2EEiiiiiiS1_IjLj3EES5_S5_.kd
    .uniform_work_group_size: 1
    .uses_dynamic_stack: false
    .vgpr_count:     17
    .vgpr_spill_count: 0
    .wavefront_size: 64
  - .agpr_count:     0
    .args:
      - .address_space:  global
        .offset:         0
        .size:           8
        .value_kind:     global_buffer
      - .address_space:  global
        .offset:         8
        .size:           8
        .value_kind:     global_buffer
      - .offset:         16
        .size:           4
        .value_kind:     by_value
      - .offset:         20
        .size:           4
        .value_kind:     by_value
      - .offset:         24
        .size:           4
        .value_kind:     by_value
      - .offset:         28
        .size:           4
        .value_kind:     by_value
      - .offset:         32
        .size:           12
        .value_kind:     by_value
      - .offset:         44
        .size:           12
        .value_kind:     by_value
      - .offset:         56
        .size:           12
        .value_kind:     by_value
      - .offset:         68
        .size:           12
        .value_kind:     by_value
      - .offset:         80
        .size:           4
        .value_kind:     hidden_block_count_x
      - .offset:         84
        .size:           4
        .value_kind:     hidden_block_count_y
      - .offset:         88
        .size:           4
        .value_kind:     hidden_block_count_z
      - .offset:         92
        .size:           2
        .value_kind:     hidden_group_size_x
      - .offset:         94
        .size:           2
        .value_kind:     hidden_group_size_y
      - .offset:         96
        .size:           2
        .value_kind:     hidden_group_size_z
      - .offset:         98
        .size:           2
        .value_kind:     hidden_remainder_x
      - .offset:         100
        .size:           2
        .value_kind:     hidden_remainder_y
      - .offset:         102
        .size:           2
        .value_kind:     hidden_remainder_z
      - .offset:         120
        .size:           8
        .value_kind:     hidden_global_offset_x
      - .offset:         128
        .size:           8
        .value_kind:     hidden_global_offset_y
      - .offset:         136
        .size:           8
        .value_kind:     hidden_global_offset_z
      - .offset:         144
        .size:           2
        .value_kind:     hidden_grid_dims
    .group_segment_fixed_size: 0
    .kernarg_segment_align: 8
    .kernarg_segment_size: 336
    .language:       OpenCL C
    .language_version:
      - 2
      - 0
    .max_flat_workgroup_size: 64
    .name:           _ZL33flash_attn_stream_k_fixup_generalILi64ELi1ELi1EEvPfPK15HIP_vector_typeIfLj2EEiiiiS1_IjLj3EES5_S5_S5_
    .private_segment_fixed_size: 0
    .sgpr_count:     42
    .sgpr_spill_count: 0
    .symbol:         _ZL33flash_attn_stream_k_fixup_generalILi64ELi1ELi1EEvPfPK15HIP_vector_typeIfLj2EEiiiiS1_IjLj3EES5_S5_S5_.kd
    .uniform_work_group_size: 1
    .uses_dynamic_stack: false
    .vgpr_count:     18
    .vgpr_spill_count: 0
    .wavefront_size: 64
  - .agpr_count:     0
    .args:
      - .address_space:  global
        .offset:         0
        .size:           8
        .value_kind:     global_buffer
      - .address_space:  global
        .offset:         8
        .size:           8
        .value_kind:     global_buffer
      - .address_space:  global
        .offset:         16
        .size:           8
        .value_kind:     global_buffer
      - .offset:         24
        .size:           4
        .value_kind:     by_value
      - .offset:         32
        .size:           4
        .value_kind:     hidden_block_count_x
      - .offset:         36
        .size:           4
        .value_kind:     hidden_block_count_y
      - .offset:         40
        .size:           4
        .value_kind:     hidden_block_count_z
      - .offset:         44
        .size:           2
        .value_kind:     hidden_group_size_x
      - .offset:         46
        .size:           2
        .value_kind:     hidden_group_size_y
      - .offset:         48
        .size:           2
        .value_kind:     hidden_group_size_z
      - .offset:         50
        .size:           2
        .value_kind:     hidden_remainder_x
      - .offset:         52
        .size:           2
        .value_kind:     hidden_remainder_y
      - .offset:         54
        .size:           2
        .value_kind:     hidden_remainder_z
      - .offset:         72
        .size:           8
        .value_kind:     hidden_global_offset_x
      - .offset:         80
        .size:           8
        .value_kind:     hidden_global_offset_y
      - .offset:         88
        .size:           8
        .value_kind:     hidden_global_offset_z
      - .offset:         96
        .size:           2
        .value_kind:     hidden_grid_dims
      - .offset:         152
        .size:           4
        .value_kind:     hidden_dynamic_lds_size
    .group_segment_fixed_size: 0
    .kernarg_segment_align: 8
    .kernarg_segment_size: 288
    .language:       OpenCL C
    .language_version:
      - 2
      - 0
    .max_flat_workgroup_size: 64
    .name:           _ZL26flash_attn_combine_resultsILi64EEvPKfPK15HIP_vector_typeIfLj2EEPfi
    .private_segment_fixed_size: 0
    .sgpr_count:     32
    .sgpr_spill_count: 0
    .symbol:         _ZL26flash_attn_combine_resultsILi64EEvPKfPK15HIP_vector_typeIfLj2EEPfi.kd
    .uniform_work_group_size: 1
    .uses_dynamic_stack: false
    .vgpr_count:     59
    .vgpr_spill_count: 0
    .wavefront_size: 64
  - .agpr_count:     0
    .args:
      - .address_space:  global
        .offset:         0
        .size:           8
        .value_kind:     global_buffer
      - .address_space:  global
        .offset:         8
        .size:           8
        .value_kind:     global_buffer
      - .address_space:  global
        .offset:         16
        .size:           8
        .value_kind:     global_buffer
      - .address_space:  global
        .offset:         24
        .size:           8
        .value_kind:     global_buffer
      - .address_space:  global
        .offset:         32
        .size:           8
        .value_kind:     global_buffer
      - .address_space:  global
        .offset:         40
        .size:           8
        .value_kind:     global_buffer
      - .address_space:  global
        .offset:         48
        .size:           8
        .value_kind:     global_buffer
      - .address_space:  global
        .offset:         56
        .size:           8
        .value_kind:     global_buffer
      - .offset:         64
        .size:           4
        .value_kind:     by_value
      - .offset:         68
        .size:           4
        .value_kind:     by_value
      - .offset:         72
        .size:           4
        .value_kind:     by_value
      - .offset:         76
        .size:           4
        .value_kind:     by_value
      - .offset:         80
        .size:           4
        .value_kind:     by_value
      - .offset:         84
        .size:           4
        .value_kind:     by_value
      - .offset:         88
        .size:           4
        .value_kind:     by_value
      - .offset:         92
        .size:           12
        .value_kind:     by_value
      - .offset:         104
        .size:           4
        .value_kind:     by_value
      - .offset:         108
        .size:           4
        .value_kind:     by_value
      - .offset:         112
        .size:           4
        .value_kind:     by_value
      - .offset:         116
        .size:           4
        .value_kind:     by_value
      - .offset:         120
        .size:           4
        .value_kind:     by_value
      - .offset:         124
        .size:           4
        .value_kind:     by_value
      - .offset:         128
        .size:           4
        .value_kind:     by_value
      - .offset:         132
        .size:           4
        .value_kind:     by_value
      - .offset:         136
        .size:           4
        .value_kind:     by_value
      - .offset:         140
        .size:           4
        .value_kind:     by_value
      - .offset:         144
        .size:           4
        .value_kind:     by_value
      - .offset:         152
        .size:           8
        .value_kind:     by_value
      - .offset:         160
        .size:           4
        .value_kind:     by_value
      - .offset:         164
        .size:           4
        .value_kind:     by_value
      - .offset:         168
        .size:           8
        .value_kind:     by_value
      - .offset:         176
        .size:           4
        .value_kind:     by_value
      - .offset:         180
        .size:           4
        .value_kind:     by_value
      - .offset:         184
        .size:           4
        .value_kind:     by_value
      - .offset:         188
        .size:           4
        .value_kind:     by_value
      - .offset:         192
        .size:           4
        .value_kind:     by_value
      - .offset:         200
        .size:           8
        .value_kind:     by_value
      - .offset:         208
        .size:           4
        .value_kind:     hidden_block_count_x
      - .offset:         212
        .size:           4
        .value_kind:     hidden_block_count_y
      - .offset:         216
        .size:           4
        .value_kind:     hidden_block_count_z
      - .offset:         220
        .size:           2
        .value_kind:     hidden_group_size_x
      - .offset:         222
        .size:           2
        .value_kind:     hidden_group_size_y
      - .offset:         224
        .size:           2
        .value_kind:     hidden_group_size_z
      - .offset:         226
        .size:           2
        .value_kind:     hidden_remainder_x
      - .offset:         228
        .size:           2
        .value_kind:     hidden_remainder_y
      - .offset:         230
        .size:           2
        .value_kind:     hidden_remainder_z
      - .offset:         248
        .size:           8
        .value_kind:     hidden_global_offset_x
      - .offset:         256
        .size:           8
        .value_kind:     hidden_global_offset_y
      - .offset:         264
        .size:           8
        .value_kind:     hidden_global_offset_z
      - .offset:         272
        .size:           2
        .value_kind:     hidden_grid_dims
      - .offset:         288
        .size:           8
        .value_kind:     hidden_hostcall_buffer
    .group_segment_fixed_size: 0
    .kernarg_segment_align: 8
    .kernarg_segment_size: 464
    .language:       OpenCL C
    .language_version:
      - 2
      - 0
    .max_flat_workgroup_size: 128
    .name:           _ZL18flash_attn_ext_vecILi64ELi1EL9ggml_type7ELS0_7ELb1EEvPKcS2_S2_S2_S2_PKiPfP15HIP_vector_typeIfLj2EEffffjfiS6_IjLj3EEiiiiiiiiiiiliiliiiiil
    .private_segment_fixed_size: 16
    .sgpr_count:     40
    .sgpr_spill_count: 0
    .symbol:         _ZL18flash_attn_ext_vecILi64ELi1EL9ggml_type7ELS0_7ELb1EEvPKcS2_S2_S2_S2_PKiPfP15HIP_vector_typeIfLj2EEffffjfiS6_IjLj3EEiiiiiiiiiiiliiliiiiil.kd
    .uniform_work_group_size: 1
    .uses_dynamic_stack: false
    .vgpr_count:     52
    .vgpr_spill_count: 0
    .wavefront_size: 64
  - .agpr_count:     0
    .args:
      - .address_space:  global
        .offset:         0
        .size:           8
        .value_kind:     global_buffer
      - .address_space:  global
        .offset:         8
        .size:           8
        .value_kind:     global_buffer
      - .address_space:  global
        .offset:         16
        .size:           8
        .value_kind:     global_buffer
      - .address_space:  global
        .offset:         24
        .size:           8
        .value_kind:     global_buffer
      - .address_space:  global
        .offset:         32
        .size:           8
        .value_kind:     global_buffer
      - .address_space:  global
        .offset:         40
        .size:           8
        .value_kind:     global_buffer
      - .address_space:  global
        .offset:         48
        .size:           8
        .value_kind:     global_buffer
      - .address_space:  global
        .offset:         56
        .size:           8
        .value_kind:     global_buffer
      - .offset:         64
        .size:           4
        .value_kind:     by_value
      - .offset:         68
        .size:           4
        .value_kind:     by_value
      - .offset:         72
        .size:           4
        .value_kind:     by_value
      - .offset:         76
        .size:           4
        .value_kind:     by_value
      - .offset:         80
        .size:           4
        .value_kind:     by_value
      - .offset:         84
        .size:           4
        .value_kind:     by_value
      - .offset:         88
        .size:           4
        .value_kind:     by_value
      - .offset:         92
        .size:           12
        .value_kind:     by_value
      - .offset:         104
        .size:           4
        .value_kind:     by_value
      - .offset:         108
        .size:           4
        .value_kind:     by_value
      - .offset:         112
        .size:           4
        .value_kind:     by_value
      - .offset:         116
        .size:           4
        .value_kind:     by_value
      - .offset:         120
        .size:           4
        .value_kind:     by_value
      - .offset:         124
        .size:           4
        .value_kind:     by_value
      - .offset:         128
        .size:           4
        .value_kind:     by_value
      - .offset:         132
        .size:           4
        .value_kind:     by_value
      - .offset:         136
        .size:           4
        .value_kind:     by_value
      - .offset:         140
        .size:           4
        .value_kind:     by_value
      - .offset:         144
        .size:           4
        .value_kind:     by_value
      - .offset:         152
        .size:           8
        .value_kind:     by_value
      - .offset:         160
        .size:           4
        .value_kind:     by_value
      - .offset:         164
        .size:           4
        .value_kind:     by_value
      - .offset:         168
        .size:           8
        .value_kind:     by_value
      - .offset:         176
        .size:           4
        .value_kind:     by_value
      - .offset:         180
        .size:           4
        .value_kind:     by_value
      - .offset:         184
        .size:           4
        .value_kind:     by_value
      - .offset:         188
        .size:           4
        .value_kind:     by_value
      - .offset:         192
        .size:           4
        .value_kind:     by_value
      - .offset:         200
        .size:           8
        .value_kind:     by_value
      - .offset:         208
        .size:           4
        .value_kind:     hidden_block_count_x
      - .offset:         212
        .size:           4
        .value_kind:     hidden_block_count_y
      - .offset:         216
        .size:           4
        .value_kind:     hidden_block_count_z
      - .offset:         220
        .size:           2
        .value_kind:     hidden_group_size_x
      - .offset:         222
        .size:           2
        .value_kind:     hidden_group_size_y
      - .offset:         224
        .size:           2
        .value_kind:     hidden_group_size_z
      - .offset:         226
        .size:           2
        .value_kind:     hidden_remainder_x
      - .offset:         228
        .size:           2
        .value_kind:     hidden_remainder_y
      - .offset:         230
        .size:           2
        .value_kind:     hidden_remainder_z
      - .offset:         248
        .size:           8
        .value_kind:     hidden_global_offset_x
      - .offset:         256
        .size:           8
        .value_kind:     hidden_global_offset_y
      - .offset:         264
        .size:           8
        .value_kind:     hidden_global_offset_z
      - .offset:         272
        .size:           2
        .value_kind:     hidden_grid_dims
    .group_segment_fixed_size: 3584
    .kernarg_segment_align: 8
    .kernarg_segment_size: 464
    .language:       OpenCL C
    .language_version:
      - 2
      - 0
    .max_flat_workgroup_size: 128
    .name:           _ZL18flash_attn_ext_vecILi64ELi2EL9ggml_type7ELS0_7ELb0EEvPKcS2_S2_S2_S2_PKiPfP15HIP_vector_typeIfLj2EEffffjfiS6_IjLj3EEiiiiiiiiiiiliiliiiiil
    .private_segment_fixed_size: 0
    .sgpr_count:     78
    .sgpr_spill_count: 0
    .symbol:         _ZL18flash_attn_ext_vecILi64ELi2EL9ggml_type7ELS0_7ELb0EEvPKcS2_S2_S2_S2_PKiPfP15HIP_vector_typeIfLj2EEffffjfiS6_IjLj3EEiiiiiiiiiiiliiliiiiil.kd
    .uniform_work_group_size: 1
    .uses_dynamic_stack: false
    .vgpr_count:     164
    .vgpr_spill_count: 0
    .wavefront_size: 64
  - .agpr_count:     0
    .args:
      - .actual_access:  read_only
        .address_space:  global
        .offset:         0
        .size:           8
        .value_kind:     global_buffer
      - .actual_access:  write_only
        .address_space:  global
        .offset:         8
        .size:           8
        .value_kind:     global_buffer
      - .offset:         16
        .size:           4
        .value_kind:     by_value
      - .offset:         20
        .size:           4
        .value_kind:     by_value
      - .offset:         24
        .size:           4
        .value_kind:     by_value
      - .offset:         32
        .size:           4
        .value_kind:     hidden_block_count_x
      - .offset:         36
        .size:           4
        .value_kind:     hidden_block_count_y
      - .offset:         40
        .size:           4
        .value_kind:     hidden_block_count_z
      - .offset:         44
        .size:           2
        .value_kind:     hidden_group_size_x
      - .offset:         46
        .size:           2
        .value_kind:     hidden_group_size_y
      - .offset:         48
        .size:           2
        .value_kind:     hidden_group_size_z
      - .offset:         50
        .size:           2
        .value_kind:     hidden_remainder_x
      - .offset:         52
        .size:           2
        .value_kind:     hidden_remainder_y
      - .offset:         54
        .size:           2
        .value_kind:     hidden_remainder_z
      - .offset:         72
        .size:           8
        .value_kind:     hidden_global_offset_x
      - .offset:         80
        .size:           8
        .value_kind:     hidden_global_offset_y
      - .offset:         88
        .size:           8
        .value_kind:     hidden_global_offset_z
      - .offset:         96
        .size:           2
        .value_kind:     hidden_grid_dims
    .group_segment_fixed_size: 128
    .kernarg_segment_align: 8
    .kernarg_segment_size: 288
    .language:       OpenCL C
    .language_version:
      - 2
      - 0
    .max_flat_workgroup_size: 128
    .name:           _ZL25flash_attn_mask_to_KV_maxILi2EEvPK7__half2Piiii
    .private_segment_fixed_size: 0
    .sgpr_count:     28
    .sgpr_spill_count: 0
    .symbol:         _ZL25flash_attn_mask_to_KV_maxILi2EEvPK7__half2Piiii.kd
    .uniform_work_group_size: 1
    .uses_dynamic_stack: false
    .vgpr_count:     17
    .vgpr_spill_count: 0
    .wavefront_size: 64
  - .agpr_count:     0
    .args:
      - .address_space:  global
        .offset:         0
        .size:           8
        .value_kind:     global_buffer
      - .address_space:  global
        .offset:         8
        .size:           8
        .value_kind:     global_buffer
      - .offset:         16
        .size:           4
        .value_kind:     by_value
      - .offset:         20
        .size:           4
        .value_kind:     by_value
      - .offset:         24
        .size:           4
        .value_kind:     by_value
      - .offset:         28
        .size:           4
        .value_kind:     by_value
      - .offset:         32
        .size:           4
        .value_kind:     by_value
      - .offset:         36
        .size:           4
        .value_kind:     by_value
      - .offset:         40
        .size:           12
        .value_kind:     by_value
      - .offset:         52
        .size:           12
        .value_kind:     by_value
      - .offset:         64
        .size:           12
        .value_kind:     by_value
    .group_segment_fixed_size: 0
    .kernarg_segment_align: 8
    .kernarg_segment_size: 76
    .language:       OpenCL C
    .language_version:
      - 2
      - 0
    .max_flat_workgroup_size: 64
    .name:           _ZL33flash_attn_stream_k_fixup_uniformILi64ELi2ELi1EEvPfPK15HIP_vector_typeIfLj2EEiiiiiiS1_IjLj3EES5_S5_
    .private_segment_fixed_size: 0
    .sgpr_count:     30
    .sgpr_spill_count: 0
    .symbol:         _ZL33flash_attn_stream_k_fixup_uniformILi64ELi2ELi1EEvPfPK15HIP_vector_typeIfLj2EEiiiiiiS1_IjLj3EES5_S5_.kd
    .uniform_work_group_size: 1
    .uses_dynamic_stack: false
    .vgpr_count:     17
    .vgpr_spill_count: 0
    .wavefront_size: 64
  - .agpr_count:     0
    .args:
      - .address_space:  global
        .offset:         0
        .size:           8
        .value_kind:     global_buffer
      - .address_space:  global
        .offset:         8
        .size:           8
        .value_kind:     global_buffer
      - .offset:         16
        .size:           4
        .value_kind:     by_value
      - .offset:         20
        .size:           4
        .value_kind:     by_value
      - .offset:         24
        .size:           4
        .value_kind:     by_value
      - .offset:         28
        .size:           4
        .value_kind:     by_value
      - .offset:         32
        .size:           12
        .value_kind:     by_value
      - .offset:         44
        .size:           12
        .value_kind:     by_value
      - .offset:         56
        .size:           12
        .value_kind:     by_value
      - .offset:         68
        .size:           12
        .value_kind:     by_value
      - .offset:         80
        .size:           4
        .value_kind:     hidden_block_count_x
      - .offset:         84
        .size:           4
        .value_kind:     hidden_block_count_y
      - .offset:         88
        .size:           4
        .value_kind:     hidden_block_count_z
      - .offset:         92
        .size:           2
        .value_kind:     hidden_group_size_x
      - .offset:         94
        .size:           2
        .value_kind:     hidden_group_size_y
      - .offset:         96
        .size:           2
        .value_kind:     hidden_group_size_z
      - .offset:         98
        .size:           2
        .value_kind:     hidden_remainder_x
      - .offset:         100
        .size:           2
        .value_kind:     hidden_remainder_y
      - .offset:         102
        .size:           2
        .value_kind:     hidden_remainder_z
      - .offset:         120
        .size:           8
        .value_kind:     hidden_global_offset_x
      - .offset:         128
        .size:           8
        .value_kind:     hidden_global_offset_y
      - .offset:         136
        .size:           8
        .value_kind:     hidden_global_offset_z
      - .offset:         144
        .size:           2
        .value_kind:     hidden_grid_dims
    .group_segment_fixed_size: 0
    .kernarg_segment_align: 8
    .kernarg_segment_size: 336
    .language:       OpenCL C
    .language_version:
      - 2
      - 0
    .max_flat_workgroup_size: 64
    .name:           _ZL33flash_attn_stream_k_fixup_generalILi64ELi2ELi1EEvPfPK15HIP_vector_typeIfLj2EEiiiiS1_IjLj3EES5_S5_S5_
    .private_segment_fixed_size: 0
    .sgpr_count:     42
    .sgpr_spill_count: 0
    .symbol:         _ZL33flash_attn_stream_k_fixup_generalILi64ELi2ELi1EEvPfPK15HIP_vector_typeIfLj2EEiiiiS1_IjLj3EES5_S5_S5_.kd
    .uniform_work_group_size: 1
    .uses_dynamic_stack: false
    .vgpr_count:     18
    .vgpr_spill_count: 0
    .wavefront_size: 64
  - .agpr_count:     0
    .args:
      - .address_space:  global
        .offset:         0
        .size:           8
        .value_kind:     global_buffer
      - .address_space:  global
        .offset:         8
        .size:           8
        .value_kind:     global_buffer
      - .address_space:  global
        .offset:         16
        .size:           8
        .value_kind:     global_buffer
      - .address_space:  global
        .offset:         24
        .size:           8
        .value_kind:     global_buffer
      - .address_space:  global
        .offset:         32
        .size:           8
        .value_kind:     global_buffer
      - .address_space:  global
        .offset:         40
        .size:           8
        .value_kind:     global_buffer
      - .address_space:  global
        .offset:         48
        .size:           8
        .value_kind:     global_buffer
      - .address_space:  global
        .offset:         56
        .size:           8
        .value_kind:     global_buffer
      - .offset:         64
        .size:           4
        .value_kind:     by_value
      - .offset:         68
        .size:           4
        .value_kind:     by_value
      - .offset:         72
        .size:           4
        .value_kind:     by_value
      - .offset:         76
        .size:           4
        .value_kind:     by_value
      - .offset:         80
        .size:           4
        .value_kind:     by_value
      - .offset:         84
        .size:           4
        .value_kind:     by_value
      - .offset:         88
        .size:           4
        .value_kind:     by_value
      - .offset:         92
        .size:           12
        .value_kind:     by_value
      - .offset:         104
        .size:           4
        .value_kind:     by_value
      - .offset:         108
        .size:           4
        .value_kind:     by_value
      - .offset:         112
        .size:           4
        .value_kind:     by_value
      - .offset:         116
        .size:           4
        .value_kind:     by_value
      - .offset:         120
        .size:           4
        .value_kind:     by_value
      - .offset:         124
        .size:           4
        .value_kind:     by_value
      - .offset:         128
        .size:           4
        .value_kind:     by_value
      - .offset:         132
        .size:           4
        .value_kind:     by_value
      - .offset:         136
        .size:           4
        .value_kind:     by_value
      - .offset:         140
        .size:           4
        .value_kind:     by_value
      - .offset:         144
        .size:           4
        .value_kind:     by_value
      - .offset:         152
        .size:           8
        .value_kind:     by_value
      - .offset:         160
        .size:           4
        .value_kind:     by_value
      - .offset:         164
        .size:           4
        .value_kind:     by_value
      - .offset:         168
        .size:           8
        .value_kind:     by_value
      - .offset:         176
        .size:           4
        .value_kind:     by_value
      - .offset:         180
        .size:           4
        .value_kind:     by_value
      - .offset:         184
        .size:           4
        .value_kind:     by_value
      - .offset:         188
        .size:           4
        .value_kind:     by_value
      - .offset:         192
        .size:           4
        .value_kind:     by_value
      - .offset:         200
        .size:           8
        .value_kind:     by_value
      - .offset:         208
        .size:           4
        .value_kind:     hidden_block_count_x
      - .offset:         212
        .size:           4
        .value_kind:     hidden_block_count_y
      - .offset:         216
        .size:           4
        .value_kind:     hidden_block_count_z
      - .offset:         220
        .size:           2
        .value_kind:     hidden_group_size_x
      - .offset:         222
        .size:           2
        .value_kind:     hidden_group_size_y
      - .offset:         224
        .size:           2
        .value_kind:     hidden_group_size_z
      - .offset:         226
        .size:           2
        .value_kind:     hidden_remainder_x
      - .offset:         228
        .size:           2
        .value_kind:     hidden_remainder_y
      - .offset:         230
        .size:           2
        .value_kind:     hidden_remainder_z
      - .offset:         248
        .size:           8
        .value_kind:     hidden_global_offset_x
      - .offset:         256
        .size:           8
        .value_kind:     hidden_global_offset_y
      - .offset:         264
        .size:           8
        .value_kind:     hidden_global_offset_z
      - .offset:         272
        .size:           2
        .value_kind:     hidden_grid_dims
      - .offset:         288
        .size:           8
        .value_kind:     hidden_hostcall_buffer
    .group_segment_fixed_size: 0
    .kernarg_segment_align: 8
    .kernarg_segment_size: 464
    .language:       OpenCL C
    .language_version:
      - 2
      - 0
    .max_flat_workgroup_size: 128
    .name:           _ZL18flash_attn_ext_vecILi64ELi2EL9ggml_type7ELS0_7ELb1EEvPKcS2_S2_S2_S2_PKiPfP15HIP_vector_typeIfLj2EEffffjfiS6_IjLj3EEiiiiiiiiiiiliiliiiiil
    .private_segment_fixed_size: 16
    .sgpr_count:     40
    .sgpr_spill_count: 0
    .symbol:         _ZL18flash_attn_ext_vecILi64ELi2EL9ggml_type7ELS0_7ELb1EEvPKcS2_S2_S2_S2_PKiPfP15HIP_vector_typeIfLj2EEffffjfiS6_IjLj3EEiiiiiiiiiiiliiliiiiil.kd
    .uniform_work_group_size: 1
    .uses_dynamic_stack: false
    .vgpr_count:     52
    .vgpr_spill_count: 0
    .wavefront_size: 64
  - .agpr_count:     0
    .args:
      - .address_space:  global
        .offset:         0
        .size:           8
        .value_kind:     global_buffer
      - .address_space:  global
        .offset:         8
        .size:           8
        .value_kind:     global_buffer
      - .address_space:  global
        .offset:         16
        .size:           8
        .value_kind:     global_buffer
      - .address_space:  global
        .offset:         24
        .size:           8
        .value_kind:     global_buffer
      - .address_space:  global
        .offset:         32
        .size:           8
        .value_kind:     global_buffer
      - .address_space:  global
        .offset:         40
        .size:           8
        .value_kind:     global_buffer
      - .address_space:  global
        .offset:         48
        .size:           8
        .value_kind:     global_buffer
      - .address_space:  global
        .offset:         56
        .size:           8
        .value_kind:     global_buffer
      - .offset:         64
        .size:           4
        .value_kind:     by_value
      - .offset:         68
        .size:           4
        .value_kind:     by_value
      - .offset:         72
        .size:           4
        .value_kind:     by_value
      - .offset:         76
        .size:           4
        .value_kind:     by_value
      - .offset:         80
        .size:           4
        .value_kind:     by_value
      - .offset:         84
        .size:           4
        .value_kind:     by_value
      - .offset:         88
        .size:           4
        .value_kind:     by_value
      - .offset:         92
        .size:           12
        .value_kind:     by_value
      - .offset:         104
        .size:           4
        .value_kind:     by_value
      - .offset:         108
        .size:           4
        .value_kind:     by_value
      - .offset:         112
        .size:           4
        .value_kind:     by_value
      - .offset:         116
        .size:           4
        .value_kind:     by_value
      - .offset:         120
        .size:           4
        .value_kind:     by_value
      - .offset:         124
        .size:           4
        .value_kind:     by_value
      - .offset:         128
        .size:           4
        .value_kind:     by_value
      - .offset:         132
        .size:           4
        .value_kind:     by_value
      - .offset:         136
        .size:           4
        .value_kind:     by_value
      - .offset:         140
        .size:           4
        .value_kind:     by_value
      - .offset:         144
        .size:           4
        .value_kind:     by_value
      - .offset:         152
        .size:           8
        .value_kind:     by_value
      - .offset:         160
        .size:           4
        .value_kind:     by_value
      - .offset:         164
        .size:           4
        .value_kind:     by_value
      - .offset:         168
        .size:           8
        .value_kind:     by_value
      - .offset:         176
        .size:           4
        .value_kind:     by_value
      - .offset:         180
        .size:           4
        .value_kind:     by_value
      - .offset:         184
        .size:           4
        .value_kind:     by_value
      - .offset:         188
        .size:           4
        .value_kind:     by_value
      - .offset:         192
        .size:           4
        .value_kind:     by_value
      - .offset:         200
        .size:           8
        .value_kind:     by_value
      - .offset:         208
        .size:           4
        .value_kind:     hidden_block_count_x
      - .offset:         212
        .size:           4
        .value_kind:     hidden_block_count_y
      - .offset:         216
        .size:           4
        .value_kind:     hidden_block_count_z
      - .offset:         220
        .size:           2
        .value_kind:     hidden_group_size_x
      - .offset:         222
        .size:           2
        .value_kind:     hidden_group_size_y
      - .offset:         224
        .size:           2
        .value_kind:     hidden_group_size_z
      - .offset:         226
        .size:           2
        .value_kind:     hidden_remainder_x
      - .offset:         228
        .size:           2
        .value_kind:     hidden_remainder_y
      - .offset:         230
        .size:           2
        .value_kind:     hidden_remainder_z
      - .offset:         248
        .size:           8
        .value_kind:     hidden_global_offset_x
      - .offset:         256
        .size:           8
        .value_kind:     hidden_global_offset_y
      - .offset:         264
        .size:           8
        .value_kind:     hidden_global_offset_z
      - .offset:         272
        .size:           2
        .value_kind:     hidden_grid_dims
    .group_segment_fixed_size: 1280
    .kernarg_segment_align: 8
    .kernarg_segment_size: 464
    .language:       OpenCL C
    .language_version:
      - 2
      - 0
    .max_flat_workgroup_size: 128
    .name:           _ZL18flash_attn_ext_vecILi128ELi1EL9ggml_type7ELS0_7ELb0EEvPKcS2_S2_S2_S2_PKiPfP15HIP_vector_typeIfLj2EEffffjfiS6_IjLj3EEiiiiiiiiiiiliiliiiiil
    .private_segment_fixed_size: 0
    .sgpr_count:     64
    .sgpr_spill_count: 0
    .symbol:         _ZL18flash_attn_ext_vecILi128ELi1EL9ggml_type7ELS0_7ELb0EEvPKcS2_S2_S2_S2_PKiPfP15HIP_vector_typeIfLj2EEffffjfiS6_IjLj3EEiiiiiiiiiiiliiliiiiil.kd
    .uniform_work_group_size: 1
    .uses_dynamic_stack: false
    .vgpr_count:     231
    .vgpr_spill_count: 0
    .wavefront_size: 64
  - .agpr_count:     0
    .args:
      - .address_space:  global
        .offset:         0
        .size:           8
        .value_kind:     global_buffer
      - .address_space:  global
        .offset:         8
        .size:           8
        .value_kind:     global_buffer
      - .offset:         16
        .size:           4
        .value_kind:     by_value
      - .offset:         20
        .size:           4
        .value_kind:     by_value
      - .offset:         24
        .size:           4
        .value_kind:     by_value
      - .offset:         28
        .size:           4
        .value_kind:     by_value
      - .offset:         32
        .size:           4
        .value_kind:     by_value
      - .offset:         36
        .size:           4
        .value_kind:     by_value
      - .offset:         40
        .size:           12
        .value_kind:     by_value
      - .offset:         52
        .size:           12
        .value_kind:     by_value
      - .offset:         64
        .size:           12
        .value_kind:     by_value
    .group_segment_fixed_size: 0
    .kernarg_segment_align: 8
    .kernarg_segment_size: 76
    .language:       OpenCL C
    .language_version:
      - 2
      - 0
    .max_flat_workgroup_size: 128
    .name:           _ZL33flash_attn_stream_k_fixup_uniformILi128ELi1ELi1EEvPfPK15HIP_vector_typeIfLj2EEiiiiiiS1_IjLj3EES5_S5_
    .private_segment_fixed_size: 0
    .sgpr_count:     26
    .sgpr_spill_count: 0
    .symbol:         _ZL33flash_attn_stream_k_fixup_uniformILi128ELi1ELi1EEvPfPK15HIP_vector_typeIfLj2EEiiiiiiS1_IjLj3EES5_S5_.kd
    .uniform_work_group_size: 1
    .uses_dynamic_stack: false
    .vgpr_count:     17
    .vgpr_spill_count: 0
    .wavefront_size: 64
  - .agpr_count:     0
    .args:
      - .address_space:  global
        .offset:         0
        .size:           8
        .value_kind:     global_buffer
      - .address_space:  global
        .offset:         8
        .size:           8
        .value_kind:     global_buffer
      - .offset:         16
        .size:           4
        .value_kind:     by_value
      - .offset:         20
        .size:           4
        .value_kind:     by_value
      - .offset:         24
        .size:           4
        .value_kind:     by_value
      - .offset:         28
        .size:           4
        .value_kind:     by_value
      - .offset:         32
        .size:           12
        .value_kind:     by_value
      - .offset:         44
        .size:           12
        .value_kind:     by_value
      - .offset:         56
        .size:           12
        .value_kind:     by_value
      - .offset:         68
        .size:           12
        .value_kind:     by_value
      - .offset:         80
        .size:           4
        .value_kind:     hidden_block_count_x
      - .offset:         84
        .size:           4
        .value_kind:     hidden_block_count_y
      - .offset:         88
        .size:           4
        .value_kind:     hidden_block_count_z
      - .offset:         92
        .size:           2
        .value_kind:     hidden_group_size_x
      - .offset:         94
        .size:           2
        .value_kind:     hidden_group_size_y
      - .offset:         96
        .size:           2
        .value_kind:     hidden_group_size_z
      - .offset:         98
        .size:           2
        .value_kind:     hidden_remainder_x
      - .offset:         100
        .size:           2
        .value_kind:     hidden_remainder_y
      - .offset:         102
        .size:           2
        .value_kind:     hidden_remainder_z
      - .offset:         120
        .size:           8
        .value_kind:     hidden_global_offset_x
      - .offset:         128
        .size:           8
        .value_kind:     hidden_global_offset_y
      - .offset:         136
        .size:           8
        .value_kind:     hidden_global_offset_z
      - .offset:         144
        .size:           2
        .value_kind:     hidden_grid_dims
    .group_segment_fixed_size: 0
    .kernarg_segment_align: 8
    .kernarg_segment_size: 336
    .language:       OpenCL C
    .language_version:
      - 2
      - 0
    .max_flat_workgroup_size: 128
    .name:           _ZL33flash_attn_stream_k_fixup_generalILi128ELi1ELi1EEvPfPK15HIP_vector_typeIfLj2EEiiiiS1_IjLj3EES5_S5_S5_
    .private_segment_fixed_size: 0
    .sgpr_count:     42
    .sgpr_spill_count: 0
    .symbol:         _ZL33flash_attn_stream_k_fixup_generalILi128ELi1ELi1EEvPfPK15HIP_vector_typeIfLj2EEiiiiS1_IjLj3EES5_S5_S5_.kd
    .uniform_work_group_size: 1
    .uses_dynamic_stack: false
    .vgpr_count:     18
    .vgpr_spill_count: 0
    .wavefront_size: 64
  - .agpr_count:     0
    .args:
      - .address_space:  global
        .offset:         0
        .size:           8
        .value_kind:     global_buffer
      - .address_space:  global
        .offset:         8
        .size:           8
        .value_kind:     global_buffer
      - .address_space:  global
        .offset:         16
        .size:           8
        .value_kind:     global_buffer
      - .offset:         24
        .size:           4
        .value_kind:     by_value
      - .offset:         32
        .size:           4
        .value_kind:     hidden_block_count_x
      - .offset:         36
        .size:           4
        .value_kind:     hidden_block_count_y
      - .offset:         40
        .size:           4
        .value_kind:     hidden_block_count_z
      - .offset:         44
        .size:           2
        .value_kind:     hidden_group_size_x
      - .offset:         46
        .size:           2
        .value_kind:     hidden_group_size_y
      - .offset:         48
        .size:           2
        .value_kind:     hidden_group_size_z
      - .offset:         50
        .size:           2
        .value_kind:     hidden_remainder_x
      - .offset:         52
        .size:           2
        .value_kind:     hidden_remainder_y
      - .offset:         54
        .size:           2
        .value_kind:     hidden_remainder_z
      - .offset:         72
        .size:           8
        .value_kind:     hidden_global_offset_x
      - .offset:         80
        .size:           8
        .value_kind:     hidden_global_offset_y
      - .offset:         88
        .size:           8
        .value_kind:     hidden_global_offset_z
      - .offset:         96
        .size:           2
        .value_kind:     hidden_grid_dims
      - .offset:         152
        .size:           4
        .value_kind:     hidden_dynamic_lds_size
    .group_segment_fixed_size: 0
    .kernarg_segment_align: 8
    .kernarg_segment_size: 288
    .language:       OpenCL C
    .language_version:
      - 2
      - 0
    .max_flat_workgroup_size: 128
    .name:           _ZL26flash_attn_combine_resultsILi128EEvPKfPK15HIP_vector_typeIfLj2EEPfi
    .private_segment_fixed_size: 0
    .sgpr_count:     32
    .sgpr_spill_count: 0
    .symbol:         _ZL26flash_attn_combine_resultsILi128EEvPKfPK15HIP_vector_typeIfLj2EEPfi.kd
    .uniform_work_group_size: 1
    .uses_dynamic_stack: false
    .vgpr_count:     59
    .vgpr_spill_count: 0
    .wavefront_size: 64
  - .agpr_count:     0
    .args:
      - .address_space:  global
        .offset:         0
        .size:           8
        .value_kind:     global_buffer
      - .address_space:  global
        .offset:         8
        .size:           8
        .value_kind:     global_buffer
      - .address_space:  global
        .offset:         16
        .size:           8
        .value_kind:     global_buffer
      - .address_space:  global
        .offset:         24
        .size:           8
        .value_kind:     global_buffer
      - .address_space:  global
        .offset:         32
        .size:           8
        .value_kind:     global_buffer
      - .address_space:  global
        .offset:         40
        .size:           8
        .value_kind:     global_buffer
      - .address_space:  global
        .offset:         48
        .size:           8
        .value_kind:     global_buffer
      - .address_space:  global
        .offset:         56
        .size:           8
        .value_kind:     global_buffer
      - .offset:         64
        .size:           4
        .value_kind:     by_value
      - .offset:         68
        .size:           4
        .value_kind:     by_value
      - .offset:         72
        .size:           4
        .value_kind:     by_value
      - .offset:         76
        .size:           4
        .value_kind:     by_value
      - .offset:         80
        .size:           4
        .value_kind:     by_value
      - .offset:         84
        .size:           4
        .value_kind:     by_value
      - .offset:         88
        .size:           4
        .value_kind:     by_value
      - .offset:         92
        .size:           12
        .value_kind:     by_value
      - .offset:         104
        .size:           4
        .value_kind:     by_value
      - .offset:         108
        .size:           4
        .value_kind:     by_value
      - .offset:         112
        .size:           4
        .value_kind:     by_value
      - .offset:         116
        .size:           4
        .value_kind:     by_value
      - .offset:         120
        .size:           4
        .value_kind:     by_value
      - .offset:         124
        .size:           4
        .value_kind:     by_value
      - .offset:         128
        .size:           4
        .value_kind:     by_value
      - .offset:         132
        .size:           4
        .value_kind:     by_value
      - .offset:         136
        .size:           4
        .value_kind:     by_value
      - .offset:         140
        .size:           4
        .value_kind:     by_value
      - .offset:         144
        .size:           4
        .value_kind:     by_value
      - .offset:         152
        .size:           8
        .value_kind:     by_value
      - .offset:         160
        .size:           4
        .value_kind:     by_value
      - .offset:         164
        .size:           4
        .value_kind:     by_value
      - .offset:         168
        .size:           8
        .value_kind:     by_value
      - .offset:         176
        .size:           4
        .value_kind:     by_value
      - .offset:         180
        .size:           4
        .value_kind:     by_value
      - .offset:         184
        .size:           4
        .value_kind:     by_value
      - .offset:         188
        .size:           4
        .value_kind:     by_value
      - .offset:         192
        .size:           4
        .value_kind:     by_value
      - .offset:         200
        .size:           8
        .value_kind:     by_value
      - .offset:         208
        .size:           4
        .value_kind:     hidden_block_count_x
      - .offset:         212
        .size:           4
        .value_kind:     hidden_block_count_y
      - .offset:         216
        .size:           4
        .value_kind:     hidden_block_count_z
      - .offset:         220
        .size:           2
        .value_kind:     hidden_group_size_x
      - .offset:         222
        .size:           2
        .value_kind:     hidden_group_size_y
      - .offset:         224
        .size:           2
        .value_kind:     hidden_group_size_z
      - .offset:         226
        .size:           2
        .value_kind:     hidden_remainder_x
      - .offset:         228
        .size:           2
        .value_kind:     hidden_remainder_y
      - .offset:         230
        .size:           2
        .value_kind:     hidden_remainder_z
      - .offset:         248
        .size:           8
        .value_kind:     hidden_global_offset_x
      - .offset:         256
        .size:           8
        .value_kind:     hidden_global_offset_y
      - .offset:         264
        .size:           8
        .value_kind:     hidden_global_offset_z
      - .offset:         272
        .size:           2
        .value_kind:     hidden_grid_dims
    .group_segment_fixed_size: 1280
    .kernarg_segment_align: 8
    .kernarg_segment_size: 464
    .language:       OpenCL C
    .language_version:
      - 2
      - 0
    .max_flat_workgroup_size: 128
    .name:           _ZL18flash_attn_ext_vecILi128ELi1EL9ggml_type7ELS0_7ELb1EEvPKcS2_S2_S2_S2_PKiPfP15HIP_vector_typeIfLj2EEffffjfiS6_IjLj3EEiiiiiiiiiiiliiliiiiil
    .private_segment_fixed_size: 0
    .sgpr_count:     66
    .sgpr_spill_count: 0
    .symbol:         _ZL18flash_attn_ext_vecILi128ELi1EL9ggml_type7ELS0_7ELb1EEvPKcS2_S2_S2_S2_PKiPfP15HIP_vector_typeIfLj2EEffffjfiS6_IjLj3EEiiiiiiiiiiiliiliiiiil.kd
    .uniform_work_group_size: 1
    .uses_dynamic_stack: false
    .vgpr_count:     232
    .vgpr_spill_count: 0
    .wavefront_size: 64
  - .agpr_count:     0
    .args:
      - .address_space:  global
        .offset:         0
        .size:           8
        .value_kind:     global_buffer
      - .address_space:  global
        .offset:         8
        .size:           8
        .value_kind:     global_buffer
      - .address_space:  global
        .offset:         16
        .size:           8
        .value_kind:     global_buffer
      - .address_space:  global
        .offset:         24
        .size:           8
        .value_kind:     global_buffer
      - .address_space:  global
        .offset:         32
        .size:           8
        .value_kind:     global_buffer
      - .address_space:  global
        .offset:         40
        .size:           8
        .value_kind:     global_buffer
      - .address_space:  global
        .offset:         48
        .size:           8
        .value_kind:     global_buffer
      - .address_space:  global
        .offset:         56
        .size:           8
        .value_kind:     global_buffer
      - .offset:         64
        .size:           4
        .value_kind:     by_value
      - .offset:         68
        .size:           4
        .value_kind:     by_value
      - .offset:         72
        .size:           4
        .value_kind:     by_value
      - .offset:         76
        .size:           4
        .value_kind:     by_value
      - .offset:         80
        .size:           4
        .value_kind:     by_value
      - .offset:         84
        .size:           4
        .value_kind:     by_value
      - .offset:         88
        .size:           4
        .value_kind:     by_value
      - .offset:         92
        .size:           12
        .value_kind:     by_value
      - .offset:         104
        .size:           4
        .value_kind:     by_value
      - .offset:         108
        .size:           4
        .value_kind:     by_value
      - .offset:         112
        .size:           4
        .value_kind:     by_value
      - .offset:         116
        .size:           4
        .value_kind:     by_value
      - .offset:         120
        .size:           4
        .value_kind:     by_value
      - .offset:         124
        .size:           4
        .value_kind:     by_value
      - .offset:         128
        .size:           4
        .value_kind:     by_value
      - .offset:         132
        .size:           4
        .value_kind:     by_value
      - .offset:         136
        .size:           4
        .value_kind:     by_value
      - .offset:         140
        .size:           4
        .value_kind:     by_value
      - .offset:         144
        .size:           4
        .value_kind:     by_value
      - .offset:         152
        .size:           8
        .value_kind:     by_value
      - .offset:         160
        .size:           4
        .value_kind:     by_value
      - .offset:         164
        .size:           4
        .value_kind:     by_value
      - .offset:         168
        .size:           8
        .value_kind:     by_value
      - .offset:         176
        .size:           4
        .value_kind:     by_value
      - .offset:         180
        .size:           4
        .value_kind:     by_value
      - .offset:         184
        .size:           4
        .value_kind:     by_value
      - .offset:         188
        .size:           4
        .value_kind:     by_value
      - .offset:         192
        .size:           4
        .value_kind:     by_value
      - .offset:         200
        .size:           8
        .value_kind:     by_value
      - .offset:         208
        .size:           4
        .value_kind:     hidden_block_count_x
      - .offset:         212
        .size:           4
        .value_kind:     hidden_block_count_y
      - .offset:         216
        .size:           4
        .value_kind:     hidden_block_count_z
      - .offset:         220
        .size:           2
        .value_kind:     hidden_group_size_x
      - .offset:         222
        .size:           2
        .value_kind:     hidden_group_size_y
      - .offset:         224
        .size:           2
        .value_kind:     hidden_group_size_z
      - .offset:         226
        .size:           2
        .value_kind:     hidden_remainder_x
      - .offset:         228
        .size:           2
        .value_kind:     hidden_remainder_y
      - .offset:         230
        .size:           2
        .value_kind:     hidden_remainder_z
      - .offset:         248
        .size:           8
        .value_kind:     hidden_global_offset_x
      - .offset:         256
        .size:           8
        .value_kind:     hidden_global_offset_y
      - .offset:         264
        .size:           8
        .value_kind:     hidden_global_offset_z
      - .offset:         272
        .size:           2
        .value_kind:     hidden_grid_dims
    .group_segment_fixed_size: 3584
    .kernarg_segment_align: 8
    .kernarg_segment_size: 464
    .language:       OpenCL C
    .language_version:
      - 2
      - 0
    .max_flat_workgroup_size: 128
    .name:           _ZL18flash_attn_ext_vecILi128ELi2EL9ggml_type7ELS0_7ELb0EEvPKcS2_S2_S2_S2_PKiPfP15HIP_vector_typeIfLj2EEffffjfiS6_IjLj3EEiiiiiiiiiiiliiliiiiil
    .private_segment_fixed_size: 0
    .sgpr_count:     78
    .sgpr_spill_count: 0
    .symbol:         _ZL18flash_attn_ext_vecILi128ELi2EL9ggml_type7ELS0_7ELb0EEvPKcS2_S2_S2_S2_PKiPfP15HIP_vector_typeIfLj2EEffffjfiS6_IjLj3EEiiiiiiiiiiiliiliiiiil.kd
    .uniform_work_group_size: 1
    .uses_dynamic_stack: false
    .vgpr_count:     255
    .vgpr_spill_count: 0
    .wavefront_size: 64
  - .agpr_count:     0
    .args:
      - .address_space:  global
        .offset:         0
        .size:           8
        .value_kind:     global_buffer
      - .address_space:  global
        .offset:         8
        .size:           8
        .value_kind:     global_buffer
      - .offset:         16
        .size:           4
        .value_kind:     by_value
      - .offset:         20
        .size:           4
        .value_kind:     by_value
      - .offset:         24
        .size:           4
        .value_kind:     by_value
      - .offset:         28
        .size:           4
        .value_kind:     by_value
      - .offset:         32
        .size:           4
        .value_kind:     by_value
      - .offset:         36
        .size:           4
        .value_kind:     by_value
      - .offset:         40
        .size:           12
        .value_kind:     by_value
      - .offset:         52
        .size:           12
        .value_kind:     by_value
      - .offset:         64
        .size:           12
        .value_kind:     by_value
    .group_segment_fixed_size: 0
    .kernarg_segment_align: 8
    .kernarg_segment_size: 76
    .language:       OpenCL C
    .language_version:
      - 2
      - 0
    .max_flat_workgroup_size: 128
    .name:           _ZL33flash_attn_stream_k_fixup_uniformILi128ELi2ELi1EEvPfPK15HIP_vector_typeIfLj2EEiiiiiiS1_IjLj3EES5_S5_
    .private_segment_fixed_size: 0
    .sgpr_count:     30
    .sgpr_spill_count: 0
    .symbol:         _ZL33flash_attn_stream_k_fixup_uniformILi128ELi2ELi1EEvPfPK15HIP_vector_typeIfLj2EEiiiiiiS1_IjLj3EES5_S5_.kd
    .uniform_work_group_size: 1
    .uses_dynamic_stack: false
    .vgpr_count:     17
    .vgpr_spill_count: 0
    .wavefront_size: 64
  - .agpr_count:     0
    .args:
      - .address_space:  global
        .offset:         0
        .size:           8
        .value_kind:     global_buffer
      - .address_space:  global
        .offset:         8
        .size:           8
        .value_kind:     global_buffer
      - .offset:         16
        .size:           4
        .value_kind:     by_value
      - .offset:         20
        .size:           4
        .value_kind:     by_value
      - .offset:         24
        .size:           4
        .value_kind:     by_value
      - .offset:         28
        .size:           4
        .value_kind:     by_value
      - .offset:         32
        .size:           12
        .value_kind:     by_value
      - .offset:         44
        .size:           12
        .value_kind:     by_value
      - .offset:         56
        .size:           12
        .value_kind:     by_value
      - .offset:         68
        .size:           12
        .value_kind:     by_value
      - .offset:         80
        .size:           4
        .value_kind:     hidden_block_count_x
      - .offset:         84
        .size:           4
        .value_kind:     hidden_block_count_y
      - .offset:         88
        .size:           4
        .value_kind:     hidden_block_count_z
      - .offset:         92
        .size:           2
        .value_kind:     hidden_group_size_x
      - .offset:         94
        .size:           2
        .value_kind:     hidden_group_size_y
      - .offset:         96
        .size:           2
        .value_kind:     hidden_group_size_z
      - .offset:         98
        .size:           2
        .value_kind:     hidden_remainder_x
      - .offset:         100
        .size:           2
        .value_kind:     hidden_remainder_y
      - .offset:         102
        .size:           2
        .value_kind:     hidden_remainder_z
      - .offset:         120
        .size:           8
        .value_kind:     hidden_global_offset_x
      - .offset:         128
        .size:           8
        .value_kind:     hidden_global_offset_y
      - .offset:         136
        .size:           8
        .value_kind:     hidden_global_offset_z
      - .offset:         144
        .size:           2
        .value_kind:     hidden_grid_dims
    .group_segment_fixed_size: 0
    .kernarg_segment_align: 8
    .kernarg_segment_size: 336
    .language:       OpenCL C
    .language_version:
      - 2
      - 0
    .max_flat_workgroup_size: 128
    .name:           _ZL33flash_attn_stream_k_fixup_generalILi128ELi2ELi1EEvPfPK15HIP_vector_typeIfLj2EEiiiiS1_IjLj3EES5_S5_S5_
    .private_segment_fixed_size: 0
    .sgpr_count:     42
    .sgpr_spill_count: 0
    .symbol:         _ZL33flash_attn_stream_k_fixup_generalILi128ELi2ELi1EEvPfPK15HIP_vector_typeIfLj2EEiiiiS1_IjLj3EES5_S5_S5_.kd
    .uniform_work_group_size: 1
    .uses_dynamic_stack: false
    .vgpr_count:     18
    .vgpr_spill_count: 0
    .wavefront_size: 64
  - .agpr_count:     0
    .args:
      - .address_space:  global
        .offset:         0
        .size:           8
        .value_kind:     global_buffer
      - .address_space:  global
        .offset:         8
        .size:           8
        .value_kind:     global_buffer
      - .address_space:  global
        .offset:         16
        .size:           8
        .value_kind:     global_buffer
      - .address_space:  global
        .offset:         24
        .size:           8
        .value_kind:     global_buffer
      - .address_space:  global
        .offset:         32
        .size:           8
        .value_kind:     global_buffer
      - .address_space:  global
        .offset:         40
        .size:           8
        .value_kind:     global_buffer
      - .address_space:  global
        .offset:         48
        .size:           8
        .value_kind:     global_buffer
      - .address_space:  global
        .offset:         56
        .size:           8
        .value_kind:     global_buffer
      - .offset:         64
        .size:           4
        .value_kind:     by_value
      - .offset:         68
        .size:           4
        .value_kind:     by_value
      - .offset:         72
        .size:           4
        .value_kind:     by_value
      - .offset:         76
        .size:           4
        .value_kind:     by_value
      - .offset:         80
        .size:           4
        .value_kind:     by_value
      - .offset:         84
        .size:           4
        .value_kind:     by_value
      - .offset:         88
        .size:           4
        .value_kind:     by_value
      - .offset:         92
        .size:           12
        .value_kind:     by_value
      - .offset:         104
        .size:           4
        .value_kind:     by_value
      - .offset:         108
        .size:           4
        .value_kind:     by_value
      - .offset:         112
        .size:           4
        .value_kind:     by_value
      - .offset:         116
        .size:           4
        .value_kind:     by_value
      - .offset:         120
        .size:           4
        .value_kind:     by_value
      - .offset:         124
        .size:           4
        .value_kind:     by_value
      - .offset:         128
        .size:           4
        .value_kind:     by_value
      - .offset:         132
        .size:           4
        .value_kind:     by_value
      - .offset:         136
        .size:           4
        .value_kind:     by_value
      - .offset:         140
        .size:           4
        .value_kind:     by_value
      - .offset:         144
        .size:           4
        .value_kind:     by_value
      - .offset:         152
        .size:           8
        .value_kind:     by_value
      - .offset:         160
        .size:           4
        .value_kind:     by_value
      - .offset:         164
        .size:           4
        .value_kind:     by_value
      - .offset:         168
        .size:           8
        .value_kind:     by_value
      - .offset:         176
        .size:           4
        .value_kind:     by_value
      - .offset:         180
        .size:           4
        .value_kind:     by_value
      - .offset:         184
        .size:           4
        .value_kind:     by_value
      - .offset:         188
        .size:           4
        .value_kind:     by_value
      - .offset:         192
        .size:           4
        .value_kind:     by_value
      - .offset:         200
        .size:           8
        .value_kind:     by_value
      - .offset:         208
        .size:           4
        .value_kind:     hidden_block_count_x
      - .offset:         212
        .size:           4
        .value_kind:     hidden_block_count_y
      - .offset:         216
        .size:           4
        .value_kind:     hidden_block_count_z
      - .offset:         220
        .size:           2
        .value_kind:     hidden_group_size_x
      - .offset:         222
        .size:           2
        .value_kind:     hidden_group_size_y
      - .offset:         224
        .size:           2
        .value_kind:     hidden_group_size_z
      - .offset:         226
        .size:           2
        .value_kind:     hidden_remainder_x
      - .offset:         228
        .size:           2
        .value_kind:     hidden_remainder_y
      - .offset:         230
        .size:           2
        .value_kind:     hidden_remainder_z
      - .offset:         248
        .size:           8
        .value_kind:     hidden_global_offset_x
      - .offset:         256
        .size:           8
        .value_kind:     hidden_global_offset_y
      - .offset:         264
        .size:           8
        .value_kind:     hidden_global_offset_z
      - .offset:         272
        .size:           2
        .value_kind:     hidden_grid_dims
    .group_segment_fixed_size: 3584
    .kernarg_segment_align: 8
    .kernarg_segment_size: 464
    .language:       OpenCL C
    .language_version:
      - 2
      - 0
    .max_flat_workgroup_size: 128
    .name:           _ZL18flash_attn_ext_vecILi128ELi2EL9ggml_type7ELS0_7ELb1EEvPKcS2_S2_S2_S2_PKiPfP15HIP_vector_typeIfLj2EEffffjfiS6_IjLj3EEiiiiiiiiiiiliiliiiiil
    .private_segment_fixed_size: 0
    .sgpr_count:     79
    .sgpr_spill_count: 0
    .symbol:         _ZL18flash_attn_ext_vecILi128ELi2EL9ggml_type7ELS0_7ELb1EEvPKcS2_S2_S2_S2_PKiPfP15HIP_vector_typeIfLj2EEffffjfiS6_IjLj3EEiiiiiiiiiiiliiliiiiil.kd
    .uniform_work_group_size: 1
    .uses_dynamic_stack: false
    .vgpr_count:     254
    .vgpr_spill_count: 0
    .wavefront_size: 64
  - .agpr_count:     0
    .args:
      - .address_space:  global
        .offset:         0
        .size:           8
        .value_kind:     global_buffer
      - .address_space:  global
        .offset:         8
        .size:           8
        .value_kind:     global_buffer
      - .address_space:  global
        .offset:         16
        .size:           8
        .value_kind:     global_buffer
      - .address_space:  global
        .offset:         24
        .size:           8
        .value_kind:     global_buffer
      - .address_space:  global
        .offset:         32
        .size:           8
        .value_kind:     global_buffer
      - .address_space:  global
        .offset:         40
        .size:           8
        .value_kind:     global_buffer
      - .address_space:  global
        .offset:         48
        .size:           8
        .value_kind:     global_buffer
      - .address_space:  global
        .offset:         56
        .size:           8
        .value_kind:     global_buffer
      - .offset:         64
        .size:           4
        .value_kind:     by_value
      - .offset:         68
        .size:           4
        .value_kind:     by_value
      - .offset:         72
        .size:           4
        .value_kind:     by_value
      - .offset:         76
        .size:           4
        .value_kind:     by_value
      - .offset:         80
        .size:           4
        .value_kind:     by_value
      - .offset:         84
        .size:           4
        .value_kind:     by_value
      - .offset:         88
        .size:           4
        .value_kind:     by_value
      - .offset:         92
        .size:           12
        .value_kind:     by_value
      - .offset:         104
        .size:           4
        .value_kind:     by_value
      - .offset:         108
        .size:           4
        .value_kind:     by_value
      - .offset:         112
        .size:           4
        .value_kind:     by_value
      - .offset:         116
        .size:           4
        .value_kind:     by_value
      - .offset:         120
        .size:           4
        .value_kind:     by_value
      - .offset:         124
        .size:           4
        .value_kind:     by_value
      - .offset:         128
        .size:           4
        .value_kind:     by_value
      - .offset:         132
        .size:           4
        .value_kind:     by_value
      - .offset:         136
        .size:           4
        .value_kind:     by_value
      - .offset:         140
        .size:           4
        .value_kind:     by_value
      - .offset:         144
        .size:           4
        .value_kind:     by_value
      - .offset:         152
        .size:           8
        .value_kind:     by_value
      - .offset:         160
        .size:           4
        .value_kind:     by_value
      - .offset:         164
        .size:           4
        .value_kind:     by_value
      - .offset:         168
        .size:           8
        .value_kind:     by_value
      - .offset:         176
        .size:           4
        .value_kind:     by_value
      - .offset:         180
        .size:           4
        .value_kind:     by_value
      - .offset:         184
        .size:           4
        .value_kind:     by_value
      - .offset:         188
        .size:           4
        .value_kind:     by_value
      - .offset:         192
        .size:           4
        .value_kind:     by_value
      - .offset:         200
        .size:           8
        .value_kind:     by_value
      - .offset:         208
        .size:           4
        .value_kind:     hidden_block_count_x
      - .offset:         212
        .size:           4
        .value_kind:     hidden_block_count_y
      - .offset:         216
        .size:           4
        .value_kind:     hidden_block_count_z
      - .offset:         220
        .size:           2
        .value_kind:     hidden_group_size_x
      - .offset:         222
        .size:           2
        .value_kind:     hidden_group_size_y
      - .offset:         224
        .size:           2
        .value_kind:     hidden_group_size_z
      - .offset:         226
        .size:           2
        .value_kind:     hidden_remainder_x
      - .offset:         228
        .size:           2
        .value_kind:     hidden_remainder_y
      - .offset:         230
        .size:           2
        .value_kind:     hidden_remainder_z
      - .offset:         248
        .size:           8
        .value_kind:     hidden_global_offset_x
      - .offset:         256
        .size:           8
        .value_kind:     hidden_global_offset_y
      - .offset:         264
        .size:           8
        .value_kind:     hidden_global_offset_z
      - .offset:         272
        .size:           2
        .value_kind:     hidden_grid_dims
    .group_segment_fixed_size: 2304
    .kernarg_segment_align: 8
    .kernarg_segment_size: 464
    .language:       OpenCL C
    .language_version:
      - 2
      - 0
    .max_flat_workgroup_size: 128
    .name:           _ZL18flash_attn_ext_vecILi256ELi1EL9ggml_type7ELS0_7ELb0EEvPKcS2_S2_S2_S2_PKiPfP15HIP_vector_typeIfLj2EEffffjfiS6_IjLj3EEiiiiiiiiiiiliiliiiiil
    .private_segment_fixed_size: 0
    .sgpr_count:     62
    .sgpr_spill_count: 0
    .symbol:         _ZL18flash_attn_ext_vecILi256ELi1EL9ggml_type7ELS0_7ELb0EEvPKcS2_S2_S2_S2_PKiPfP15HIP_vector_typeIfLj2EEffffjfiS6_IjLj3EEiiiiiiiiiiiliiliiiiil.kd
    .uniform_work_group_size: 1
    .uses_dynamic_stack: false
    .vgpr_count:     165
    .vgpr_spill_count: 0
    .wavefront_size: 64
  - .agpr_count:     0
    .args:
      - .address_space:  global
        .offset:         0
        .size:           8
        .value_kind:     global_buffer
      - .address_space:  global
        .offset:         8
        .size:           8
        .value_kind:     global_buffer
      - .offset:         16
        .size:           4
        .value_kind:     by_value
      - .offset:         20
        .size:           4
        .value_kind:     by_value
      - .offset:         24
        .size:           4
        .value_kind:     by_value
      - .offset:         28
        .size:           4
        .value_kind:     by_value
      - .offset:         32
        .size:           4
        .value_kind:     by_value
      - .offset:         36
        .size:           4
        .value_kind:     by_value
      - .offset:         40
        .size:           12
        .value_kind:     by_value
      - .offset:         52
        .size:           12
        .value_kind:     by_value
      - .offset:         64
        .size:           12
        .value_kind:     by_value
    .group_segment_fixed_size: 0
    .kernarg_segment_align: 8
    .kernarg_segment_size: 76
    .language:       OpenCL C
    .language_version:
      - 2
      - 0
    .max_flat_workgroup_size: 256
    .name:           _ZL33flash_attn_stream_k_fixup_uniformILi256ELi1ELi1EEvPfPK15HIP_vector_typeIfLj2EEiiiiiiS1_IjLj3EES5_S5_
    .private_segment_fixed_size: 0
    .sgpr_count:     26
    .sgpr_spill_count: 0
    .symbol:         _ZL33flash_attn_stream_k_fixup_uniformILi256ELi1ELi1EEvPfPK15HIP_vector_typeIfLj2EEiiiiiiS1_IjLj3EES5_S5_.kd
    .uniform_work_group_size: 1
    .uses_dynamic_stack: false
    .vgpr_count:     17
    .vgpr_spill_count: 0
    .wavefront_size: 64
  - .agpr_count:     0
    .args:
      - .address_space:  global
        .offset:         0
        .size:           8
        .value_kind:     global_buffer
      - .address_space:  global
        .offset:         8
        .size:           8
        .value_kind:     global_buffer
      - .offset:         16
        .size:           4
        .value_kind:     by_value
      - .offset:         20
        .size:           4
        .value_kind:     by_value
      - .offset:         24
        .size:           4
        .value_kind:     by_value
      - .offset:         28
        .size:           4
        .value_kind:     by_value
      - .offset:         32
        .size:           12
        .value_kind:     by_value
      - .offset:         44
        .size:           12
        .value_kind:     by_value
      - .offset:         56
        .size:           12
        .value_kind:     by_value
      - .offset:         68
        .size:           12
        .value_kind:     by_value
      - .offset:         80
        .size:           4
        .value_kind:     hidden_block_count_x
      - .offset:         84
        .size:           4
        .value_kind:     hidden_block_count_y
      - .offset:         88
        .size:           4
        .value_kind:     hidden_block_count_z
      - .offset:         92
        .size:           2
        .value_kind:     hidden_group_size_x
      - .offset:         94
        .size:           2
        .value_kind:     hidden_group_size_y
      - .offset:         96
        .size:           2
        .value_kind:     hidden_group_size_z
      - .offset:         98
        .size:           2
        .value_kind:     hidden_remainder_x
      - .offset:         100
        .size:           2
        .value_kind:     hidden_remainder_y
      - .offset:         102
        .size:           2
        .value_kind:     hidden_remainder_z
      - .offset:         120
        .size:           8
        .value_kind:     hidden_global_offset_x
      - .offset:         128
        .size:           8
        .value_kind:     hidden_global_offset_y
      - .offset:         136
        .size:           8
        .value_kind:     hidden_global_offset_z
      - .offset:         144
        .size:           2
        .value_kind:     hidden_grid_dims
    .group_segment_fixed_size: 0
    .kernarg_segment_align: 8
    .kernarg_segment_size: 336
    .language:       OpenCL C
    .language_version:
      - 2
      - 0
    .max_flat_workgroup_size: 256
    .name:           _ZL33flash_attn_stream_k_fixup_generalILi256ELi1ELi1EEvPfPK15HIP_vector_typeIfLj2EEiiiiS1_IjLj3EES5_S5_S5_
    .private_segment_fixed_size: 0
    .sgpr_count:     42
    .sgpr_spill_count: 0
    .symbol:         _ZL33flash_attn_stream_k_fixup_generalILi256ELi1ELi1EEvPfPK15HIP_vector_typeIfLj2EEiiiiS1_IjLj3EES5_S5_S5_.kd
    .uniform_work_group_size: 1
    .uses_dynamic_stack: false
    .vgpr_count:     18
    .vgpr_spill_count: 0
    .wavefront_size: 64
  - .agpr_count:     0
    .args:
      - .address_space:  global
        .offset:         0
        .size:           8
        .value_kind:     global_buffer
      - .address_space:  global
        .offset:         8
        .size:           8
        .value_kind:     global_buffer
      - .address_space:  global
        .offset:         16
        .size:           8
        .value_kind:     global_buffer
      - .offset:         24
        .size:           4
        .value_kind:     by_value
      - .offset:         32
        .size:           4
        .value_kind:     hidden_block_count_x
      - .offset:         36
        .size:           4
        .value_kind:     hidden_block_count_y
      - .offset:         40
        .size:           4
        .value_kind:     hidden_block_count_z
      - .offset:         44
        .size:           2
        .value_kind:     hidden_group_size_x
      - .offset:         46
        .size:           2
        .value_kind:     hidden_group_size_y
      - .offset:         48
        .size:           2
        .value_kind:     hidden_group_size_z
      - .offset:         50
        .size:           2
        .value_kind:     hidden_remainder_x
      - .offset:         52
        .size:           2
        .value_kind:     hidden_remainder_y
      - .offset:         54
        .size:           2
        .value_kind:     hidden_remainder_z
      - .offset:         72
        .size:           8
        .value_kind:     hidden_global_offset_x
      - .offset:         80
        .size:           8
        .value_kind:     hidden_global_offset_y
      - .offset:         88
        .size:           8
        .value_kind:     hidden_global_offset_z
      - .offset:         96
        .size:           2
        .value_kind:     hidden_grid_dims
      - .offset:         152
        .size:           4
        .value_kind:     hidden_dynamic_lds_size
    .group_segment_fixed_size: 0
    .kernarg_segment_align: 8
    .kernarg_segment_size: 288
    .language:       OpenCL C
    .language_version:
      - 2
      - 0
    .max_flat_workgroup_size: 256
    .name:           _ZL26flash_attn_combine_resultsILi256EEvPKfPK15HIP_vector_typeIfLj2EEPfi
    .private_segment_fixed_size: 0
    .sgpr_count:     32
    .sgpr_spill_count: 0
    .symbol:         _ZL26flash_attn_combine_resultsILi256EEvPKfPK15HIP_vector_typeIfLj2EEPfi.kd
    .uniform_work_group_size: 1
    .uses_dynamic_stack: false
    .vgpr_count:     59
    .vgpr_spill_count: 0
    .wavefront_size: 64
  - .agpr_count:     0
    .args:
      - .address_space:  global
        .offset:         0
        .size:           8
        .value_kind:     global_buffer
      - .address_space:  global
        .offset:         8
        .size:           8
        .value_kind:     global_buffer
      - .address_space:  global
        .offset:         16
        .size:           8
        .value_kind:     global_buffer
      - .address_space:  global
        .offset:         24
        .size:           8
        .value_kind:     global_buffer
      - .address_space:  global
        .offset:         32
        .size:           8
        .value_kind:     global_buffer
      - .address_space:  global
        .offset:         40
        .size:           8
        .value_kind:     global_buffer
      - .address_space:  global
        .offset:         48
        .size:           8
        .value_kind:     global_buffer
      - .address_space:  global
        .offset:         56
        .size:           8
        .value_kind:     global_buffer
      - .offset:         64
        .size:           4
        .value_kind:     by_value
      - .offset:         68
        .size:           4
        .value_kind:     by_value
      - .offset:         72
        .size:           4
        .value_kind:     by_value
      - .offset:         76
        .size:           4
        .value_kind:     by_value
      - .offset:         80
        .size:           4
        .value_kind:     by_value
      - .offset:         84
        .size:           4
        .value_kind:     by_value
      - .offset:         88
        .size:           4
        .value_kind:     by_value
      - .offset:         92
        .size:           12
        .value_kind:     by_value
      - .offset:         104
        .size:           4
        .value_kind:     by_value
      - .offset:         108
        .size:           4
        .value_kind:     by_value
      - .offset:         112
        .size:           4
        .value_kind:     by_value
      - .offset:         116
        .size:           4
        .value_kind:     by_value
      - .offset:         120
        .size:           4
        .value_kind:     by_value
      - .offset:         124
        .size:           4
        .value_kind:     by_value
      - .offset:         128
        .size:           4
        .value_kind:     by_value
      - .offset:         132
        .size:           4
        .value_kind:     by_value
      - .offset:         136
        .size:           4
        .value_kind:     by_value
      - .offset:         140
        .size:           4
        .value_kind:     by_value
      - .offset:         144
        .size:           4
        .value_kind:     by_value
      - .offset:         152
        .size:           8
        .value_kind:     by_value
      - .offset:         160
        .size:           4
        .value_kind:     by_value
      - .offset:         164
        .size:           4
        .value_kind:     by_value
      - .offset:         168
        .size:           8
        .value_kind:     by_value
      - .offset:         176
        .size:           4
        .value_kind:     by_value
      - .offset:         180
        .size:           4
        .value_kind:     by_value
      - .offset:         184
        .size:           4
        .value_kind:     by_value
      - .offset:         188
        .size:           4
        .value_kind:     by_value
      - .offset:         192
        .size:           4
        .value_kind:     by_value
      - .offset:         200
        .size:           8
        .value_kind:     by_value
      - .offset:         208
        .size:           4
        .value_kind:     hidden_block_count_x
      - .offset:         212
        .size:           4
        .value_kind:     hidden_block_count_y
      - .offset:         216
        .size:           4
        .value_kind:     hidden_block_count_z
      - .offset:         220
        .size:           2
        .value_kind:     hidden_group_size_x
      - .offset:         222
        .size:           2
        .value_kind:     hidden_group_size_y
      - .offset:         224
        .size:           2
        .value_kind:     hidden_group_size_z
      - .offset:         226
        .size:           2
        .value_kind:     hidden_remainder_x
      - .offset:         228
        .size:           2
        .value_kind:     hidden_remainder_y
      - .offset:         230
        .size:           2
        .value_kind:     hidden_remainder_z
      - .offset:         248
        .size:           8
        .value_kind:     hidden_global_offset_x
      - .offset:         256
        .size:           8
        .value_kind:     hidden_global_offset_y
      - .offset:         264
        .size:           8
        .value_kind:     hidden_global_offset_z
      - .offset:         272
        .size:           2
        .value_kind:     hidden_grid_dims
    .group_segment_fixed_size: 2304
    .kernarg_segment_align: 8
    .kernarg_segment_size: 464
    .language:       OpenCL C
    .language_version:
      - 2
      - 0
    .max_flat_workgroup_size: 128
    .name:           _ZL18flash_attn_ext_vecILi256ELi1EL9ggml_type7ELS0_7ELb1EEvPKcS2_S2_S2_S2_PKiPfP15HIP_vector_typeIfLj2EEffffjfiS6_IjLj3EEiiiiiiiiiiiliiliiiiil
    .private_segment_fixed_size: 0
    .sgpr_count:     62
    .sgpr_spill_count: 0
    .symbol:         _ZL18flash_attn_ext_vecILi256ELi1EL9ggml_type7ELS0_7ELb1EEvPKcS2_S2_S2_S2_PKiPfP15HIP_vector_typeIfLj2EEffffjfiS6_IjLj3EEiiiiiiiiiiiliiliiiiil.kd
    .uniform_work_group_size: 1
    .uses_dynamic_stack: false
    .vgpr_count:     167
    .vgpr_spill_count: 0
    .wavefront_size: 64
  - .agpr_count:     0
    .args:
      - .address_space:  global
        .offset:         0
        .size:           8
        .value_kind:     global_buffer
      - .address_space:  global
        .offset:         8
        .size:           8
        .value_kind:     global_buffer
      - .address_space:  global
        .offset:         16
        .size:           8
        .value_kind:     global_buffer
      - .address_space:  global
        .offset:         24
        .size:           8
        .value_kind:     global_buffer
      - .address_space:  global
        .offset:         32
        .size:           8
        .value_kind:     global_buffer
      - .address_space:  global
        .offset:         40
        .size:           8
        .value_kind:     global_buffer
      - .address_space:  global
        .offset:         48
        .size:           8
        .value_kind:     global_buffer
      - .address_space:  global
        .offset:         56
        .size:           8
        .value_kind:     global_buffer
      - .offset:         64
        .size:           4
        .value_kind:     by_value
      - .offset:         68
        .size:           4
        .value_kind:     by_value
      - .offset:         72
        .size:           4
        .value_kind:     by_value
      - .offset:         76
        .size:           4
        .value_kind:     by_value
      - .offset:         80
        .size:           4
        .value_kind:     by_value
      - .offset:         84
        .size:           4
        .value_kind:     by_value
      - .offset:         88
        .size:           4
        .value_kind:     by_value
      - .offset:         92
        .size:           12
        .value_kind:     by_value
      - .offset:         104
        .size:           4
        .value_kind:     by_value
      - .offset:         108
        .size:           4
        .value_kind:     by_value
      - .offset:         112
        .size:           4
        .value_kind:     by_value
      - .offset:         116
        .size:           4
        .value_kind:     by_value
      - .offset:         120
        .size:           4
        .value_kind:     by_value
      - .offset:         124
        .size:           4
        .value_kind:     by_value
      - .offset:         128
        .size:           4
        .value_kind:     by_value
      - .offset:         132
        .size:           4
        .value_kind:     by_value
      - .offset:         136
        .size:           4
        .value_kind:     by_value
      - .offset:         140
        .size:           4
        .value_kind:     by_value
      - .offset:         144
        .size:           4
        .value_kind:     by_value
      - .offset:         152
        .size:           8
        .value_kind:     by_value
      - .offset:         160
        .size:           4
        .value_kind:     by_value
      - .offset:         164
        .size:           4
        .value_kind:     by_value
      - .offset:         168
        .size:           8
        .value_kind:     by_value
      - .offset:         176
        .size:           4
        .value_kind:     by_value
      - .offset:         180
        .size:           4
        .value_kind:     by_value
      - .offset:         184
        .size:           4
        .value_kind:     by_value
      - .offset:         188
        .size:           4
        .value_kind:     by_value
      - .offset:         192
        .size:           4
        .value_kind:     by_value
      - .offset:         200
        .size:           8
        .value_kind:     by_value
      - .offset:         208
        .size:           4
        .value_kind:     hidden_block_count_x
      - .offset:         212
        .size:           4
        .value_kind:     hidden_block_count_y
      - .offset:         216
        .size:           4
        .value_kind:     hidden_block_count_z
      - .offset:         220
        .size:           2
        .value_kind:     hidden_group_size_x
      - .offset:         222
        .size:           2
        .value_kind:     hidden_group_size_y
      - .offset:         224
        .size:           2
        .value_kind:     hidden_group_size_z
      - .offset:         226
        .size:           2
        .value_kind:     hidden_remainder_x
      - .offset:         228
        .size:           2
        .value_kind:     hidden_remainder_y
      - .offset:         230
        .size:           2
        .value_kind:     hidden_remainder_z
      - .offset:         248
        .size:           8
        .value_kind:     hidden_global_offset_x
      - .offset:         256
        .size:           8
        .value_kind:     hidden_global_offset_y
      - .offset:         264
        .size:           8
        .value_kind:     hidden_global_offset_z
      - .offset:         272
        .size:           2
        .value_kind:     hidden_grid_dims
    .group_segment_fixed_size: 6656
    .kernarg_segment_align: 8
    .kernarg_segment_size: 464
    .language:       OpenCL C
    .language_version:
      - 2
      - 0
    .max_flat_workgroup_size: 128
    .name:           _ZL18flash_attn_ext_vecILi256ELi2EL9ggml_type7ELS0_7ELb0EEvPKcS2_S2_S2_S2_PKiPfP15HIP_vector_typeIfLj2EEffffjfiS6_IjLj3EEiiiiiiiiiiiliiliiiiil
    .private_segment_fixed_size: 0
    .sgpr_count:     62
    .sgpr_spill_count: 0
    .symbol:         _ZL18flash_attn_ext_vecILi256ELi2EL9ggml_type7ELS0_7ELb0EEvPKcS2_S2_S2_S2_PKiPfP15HIP_vector_typeIfLj2EEffffjfiS6_IjLj3EEiiiiiiiiiiiliiliiiiil.kd
    .uniform_work_group_size: 1
    .uses_dynamic_stack: false
    .vgpr_count:     234
    .vgpr_spill_count: 0
    .wavefront_size: 64
  - .agpr_count:     0
    .args:
      - .address_space:  global
        .offset:         0
        .size:           8
        .value_kind:     global_buffer
      - .address_space:  global
        .offset:         8
        .size:           8
        .value_kind:     global_buffer
      - .offset:         16
        .size:           4
        .value_kind:     by_value
      - .offset:         20
        .size:           4
        .value_kind:     by_value
      - .offset:         24
        .size:           4
        .value_kind:     by_value
      - .offset:         28
        .size:           4
        .value_kind:     by_value
      - .offset:         32
        .size:           4
        .value_kind:     by_value
      - .offset:         36
        .size:           4
        .value_kind:     by_value
      - .offset:         40
        .size:           12
        .value_kind:     by_value
      - .offset:         52
        .size:           12
        .value_kind:     by_value
      - .offset:         64
        .size:           12
        .value_kind:     by_value
    .group_segment_fixed_size: 0
    .kernarg_segment_align: 8
    .kernarg_segment_size: 76
    .language:       OpenCL C
    .language_version:
      - 2
      - 0
    .max_flat_workgroup_size: 256
    .name:           _ZL33flash_attn_stream_k_fixup_uniformILi256ELi2ELi1EEvPfPK15HIP_vector_typeIfLj2EEiiiiiiS1_IjLj3EES5_S5_
    .private_segment_fixed_size: 0
    .sgpr_count:     30
    .sgpr_spill_count: 0
    .symbol:         _ZL33flash_attn_stream_k_fixup_uniformILi256ELi2ELi1EEvPfPK15HIP_vector_typeIfLj2EEiiiiiiS1_IjLj3EES5_S5_.kd
    .uniform_work_group_size: 1
    .uses_dynamic_stack: false
    .vgpr_count:     17
    .vgpr_spill_count: 0
    .wavefront_size: 64
  - .agpr_count:     0
    .args:
      - .address_space:  global
        .offset:         0
        .size:           8
        .value_kind:     global_buffer
      - .address_space:  global
        .offset:         8
        .size:           8
        .value_kind:     global_buffer
      - .offset:         16
        .size:           4
        .value_kind:     by_value
      - .offset:         20
        .size:           4
        .value_kind:     by_value
      - .offset:         24
        .size:           4
        .value_kind:     by_value
      - .offset:         28
        .size:           4
        .value_kind:     by_value
      - .offset:         32
        .size:           12
        .value_kind:     by_value
      - .offset:         44
        .size:           12
        .value_kind:     by_value
      - .offset:         56
        .size:           12
        .value_kind:     by_value
      - .offset:         68
        .size:           12
        .value_kind:     by_value
      - .offset:         80
        .size:           4
        .value_kind:     hidden_block_count_x
      - .offset:         84
        .size:           4
        .value_kind:     hidden_block_count_y
      - .offset:         88
        .size:           4
        .value_kind:     hidden_block_count_z
      - .offset:         92
        .size:           2
        .value_kind:     hidden_group_size_x
      - .offset:         94
        .size:           2
        .value_kind:     hidden_group_size_y
      - .offset:         96
        .size:           2
        .value_kind:     hidden_group_size_z
      - .offset:         98
        .size:           2
        .value_kind:     hidden_remainder_x
      - .offset:         100
        .size:           2
        .value_kind:     hidden_remainder_y
      - .offset:         102
        .size:           2
        .value_kind:     hidden_remainder_z
      - .offset:         120
        .size:           8
        .value_kind:     hidden_global_offset_x
      - .offset:         128
        .size:           8
        .value_kind:     hidden_global_offset_y
      - .offset:         136
        .size:           8
        .value_kind:     hidden_global_offset_z
      - .offset:         144
        .size:           2
        .value_kind:     hidden_grid_dims
    .group_segment_fixed_size: 0
    .kernarg_segment_align: 8
    .kernarg_segment_size: 336
    .language:       OpenCL C
    .language_version:
      - 2
      - 0
    .max_flat_workgroup_size: 256
    .name:           _ZL33flash_attn_stream_k_fixup_generalILi256ELi2ELi1EEvPfPK15HIP_vector_typeIfLj2EEiiiiS1_IjLj3EES5_S5_S5_
    .private_segment_fixed_size: 0
    .sgpr_count:     42
    .sgpr_spill_count: 0
    .symbol:         _ZL33flash_attn_stream_k_fixup_generalILi256ELi2ELi1EEvPfPK15HIP_vector_typeIfLj2EEiiiiS1_IjLj3EES5_S5_S5_.kd
    .uniform_work_group_size: 1
    .uses_dynamic_stack: false
    .vgpr_count:     18
    .vgpr_spill_count: 0
    .wavefront_size: 64
  - .agpr_count:     0
    .args:
      - .address_space:  global
        .offset:         0
        .size:           8
        .value_kind:     global_buffer
      - .address_space:  global
        .offset:         8
        .size:           8
        .value_kind:     global_buffer
      - .address_space:  global
        .offset:         16
        .size:           8
        .value_kind:     global_buffer
      - .address_space:  global
        .offset:         24
        .size:           8
        .value_kind:     global_buffer
      - .address_space:  global
        .offset:         32
        .size:           8
        .value_kind:     global_buffer
      - .address_space:  global
        .offset:         40
        .size:           8
        .value_kind:     global_buffer
      - .address_space:  global
        .offset:         48
        .size:           8
        .value_kind:     global_buffer
      - .address_space:  global
        .offset:         56
        .size:           8
        .value_kind:     global_buffer
      - .offset:         64
        .size:           4
        .value_kind:     by_value
      - .offset:         68
        .size:           4
        .value_kind:     by_value
      - .offset:         72
        .size:           4
        .value_kind:     by_value
      - .offset:         76
        .size:           4
        .value_kind:     by_value
      - .offset:         80
        .size:           4
        .value_kind:     by_value
      - .offset:         84
        .size:           4
        .value_kind:     by_value
      - .offset:         88
        .size:           4
        .value_kind:     by_value
      - .offset:         92
        .size:           12
        .value_kind:     by_value
      - .offset:         104
        .size:           4
        .value_kind:     by_value
      - .offset:         108
        .size:           4
        .value_kind:     by_value
      - .offset:         112
        .size:           4
        .value_kind:     by_value
      - .offset:         116
        .size:           4
        .value_kind:     by_value
      - .offset:         120
        .size:           4
        .value_kind:     by_value
      - .offset:         124
        .size:           4
        .value_kind:     by_value
      - .offset:         128
        .size:           4
        .value_kind:     by_value
      - .offset:         132
        .size:           4
        .value_kind:     by_value
      - .offset:         136
        .size:           4
        .value_kind:     by_value
      - .offset:         140
        .size:           4
        .value_kind:     by_value
      - .offset:         144
        .size:           4
        .value_kind:     by_value
      - .offset:         152
        .size:           8
        .value_kind:     by_value
      - .offset:         160
        .size:           4
        .value_kind:     by_value
      - .offset:         164
        .size:           4
        .value_kind:     by_value
      - .offset:         168
        .size:           8
        .value_kind:     by_value
      - .offset:         176
        .size:           4
        .value_kind:     by_value
      - .offset:         180
        .size:           4
        .value_kind:     by_value
      - .offset:         184
        .size:           4
        .value_kind:     by_value
      - .offset:         188
        .size:           4
        .value_kind:     by_value
      - .offset:         192
        .size:           4
        .value_kind:     by_value
      - .offset:         200
        .size:           8
        .value_kind:     by_value
      - .offset:         208
        .size:           4
        .value_kind:     hidden_block_count_x
      - .offset:         212
        .size:           4
        .value_kind:     hidden_block_count_y
      - .offset:         216
        .size:           4
        .value_kind:     hidden_block_count_z
      - .offset:         220
        .size:           2
        .value_kind:     hidden_group_size_x
      - .offset:         222
        .size:           2
        .value_kind:     hidden_group_size_y
      - .offset:         224
        .size:           2
        .value_kind:     hidden_group_size_z
      - .offset:         226
        .size:           2
        .value_kind:     hidden_remainder_x
      - .offset:         228
        .size:           2
        .value_kind:     hidden_remainder_y
      - .offset:         230
        .size:           2
        .value_kind:     hidden_remainder_z
      - .offset:         248
        .size:           8
        .value_kind:     hidden_global_offset_x
      - .offset:         256
        .size:           8
        .value_kind:     hidden_global_offset_y
      - .offset:         264
        .size:           8
        .value_kind:     hidden_global_offset_z
      - .offset:         272
        .size:           2
        .value_kind:     hidden_grid_dims
    .group_segment_fixed_size: 6656
    .kernarg_segment_align: 8
    .kernarg_segment_size: 464
    .language:       OpenCL C
    .language_version:
      - 2
      - 0
    .max_flat_workgroup_size: 128
    .name:           _ZL18flash_attn_ext_vecILi256ELi2EL9ggml_type7ELS0_7ELb1EEvPKcS2_S2_S2_S2_PKiPfP15HIP_vector_typeIfLj2EEffffjfiS6_IjLj3EEiiiiiiiiiiiliiliiiiil
    .private_segment_fixed_size: 0
    .sgpr_count:     63
    .sgpr_spill_count: 0
    .symbol:         _ZL18flash_attn_ext_vecILi256ELi2EL9ggml_type7ELS0_7ELb1EEvPKcS2_S2_S2_S2_PKiPfP15HIP_vector_typeIfLj2EEffffjfiS6_IjLj3EEiiiiiiiiiiiliiliiiiil.kd
    .uniform_work_group_size: 1
    .uses_dynamic_stack: false
    .vgpr_count:     235
    .vgpr_spill_count: 0
    .wavefront_size: 64
amdhsa.target:   amdgcn-amd-amdhsa--gfx950
amdhsa.version:
  - 1
  - 2
...

	.end_amdgpu_metadata
